;; amdgpu-corpus repo=ROCm/aiter kind=harvested arch=n/a opt=n/a

/root/src/amdgpu-assembly/repos/ROCm__aiter/hsa/gfx950/f4gemm/f4gemm_bf16_per1x32Fp4_BpreShuffle_160x128.co:	file format elf64-amdgpu

Disassembly of section .text:

0000000000002c00 <_ZN5aiter42f4gemm_bf16_per1x32Fp4_BpreShuffle_160x128E>:
	s_and_b32 s1, s1, 0xffff                                   // 000000002C00: 8601FF01 0000FFFF
	s_load_dwordx2 s[4:5], s[0:1], 0x0                         // 000000002C08: C0060100 00000000
	s_load_dwordx2 s[8:9], s[0:1], 0x10                        // 000000002C10: C0060200 00000010
	s_load_dwordx2 s[12:13], s[0:1], 0x20                      // 000000002C18: C0060300 00000020
	s_load_dwordx2 s[16:17], s[0:1], 0x30                      // 000000002C20: C0060400 00000030
	s_load_dword s41, s[0:1], 0x40                             // 000000002C28: C0020A40 00000040
	s_load_dword s42, s[0:1], 0x50                             // 000000002C30: C0020A80 00000050
	s_load_dword s36, s[0:1], 0x80                             // 000000002C38: C0020900 00000080
	s_load_dword s37, s[0:1], 0xa0                             // 000000002C40: C0020940 000000A0
	s_load_dword s38, s[0:1], 0xc0                             // 000000002C48: C0020980 000000C0
	s_load_dword s43, s[0:1], 0xe0                             // 000000002C50: C0020AC0 000000E0
	s_load_dword s44, s[0:1], 0xf0                             // 000000002C58: C0020B00 000000F0
	s_load_dword s45, s[0:1], 0x100                            // 000000002C60: C0020B40 00000100
	s_load_dwordx2 s[20:21], s[0:1], 0x110                     // 000000002C68: C0060500 00000110
	s_load_dwordx2 s[24:25], s[0:1], 0x120                     // 000000002C70: C0060600 00000120
	s_load_dword s39, s[0:1], 0x130                            // 000000002C78: C00209C0 00000130
	s_load_dword s40, s[0:1], 0x150                            // 000000002C80: C0020A00 00000150
	v_lshrrev_b32_e32 v1, 10, v0                               // 000000002C88: 2002008A
	v_lshrrev_b32_e32 v2, 10, v1                               // 000000002C8C: 2004028A
	v_and_b32_e32 v2, 0x3ff, v2                                // 000000002C90: 260404FF 000003FF
	v_and_b32_e32 v1, 0x3ff, v1                                // 000000002C98: 260202FF 000003FF
	v_and_b32_e32 v0, 0x3ff, v0                                // 000000002CA0: 260000FF 000003FF
	v_lshrrev_b32_e32 v3, 6, v0                                // 000000002CA8: 20060086
	v_and_b32_e32 v0, 63, v0                                   // 000000002CAC: 260000BF
	s_mov_b32 s47, s2                                          // 000000002CB0: BEAF0002
	s_mov_b32 s48, s3                                          // 000000002CB4: BEB00003
	v_readfirstlane_b32 s46, v3                                // 000000002CB8: 7E5C0503
	s_waitcnt lgkmcnt(0)                                       // 000000002CBC: BF8CC07F
	s_add_u32 s51, s44, 0x7f                                   // 000000002CC0: 8033FF2C 0000007F
	s_lshr_b32 s50, s51, 7                                     // 000000002CC8: 8F328733
	s_mul_i32 s49, s50, s48                                    // 000000002CCC: 92313032
	s_add_i32 s49, s49, s47                                    // 000000002CD0: 81312F31
	s_add_u32 s51, s43, 0x9f                                   // 000000002CD4: 8033FF2B 0000009F
	s_mov_b32 s63, 0xa0                                        // 000000002CDC: BEBF00FF 000000A0
	v_cvt_f32_u32_e32 v4, s63                                  // 000000002CE4: 7E080C3F
	s_sub_i32 s62, 0, s63                                      // 000000002CE8: 81BE3F80
	v_rcp_iflag_f32_e32 v4, v4                                 // 000000002CEC: 7E084704
	s_nop 0                                                    // 000000002CF0: BF800000
	v_mul_f32_e32 v4, 0x4f7ffffe, v4                           // 000000002CF4: 0A0808FF 4F7FFFFE
	v_cvt_u32_f32_e32 v4, v4                                   // 000000002CFC: 7E080F04
	v_mul_lo_u32 v5, s62, v4                                   // 000000002D00: D2850005 0002083E
	v_mul_hi_u32 v5, v4, v5                                    // 000000002D08: D2860005 00020B04
	v_add_u32_e32 v4, v4, v5                                   // 000000002D10: 68080B04
	v_mul_hi_u32 v4, s51, v4                                   // 000000002D14: D2860004 00020833
	v_mul_lo_u32 v5, v4, s63                                   // 000000002D1C: D2850005 00007F04
	v_sub_u32_e32 v7, s51, v5                                  // 000000002D24: 6A0E0A33
	v_add_u32_e32 v6, 1, v4                                    // 000000002D28: 680C0881
	v_cmp_le_u32_e32 vcc, s63, v7                              // 000000002D2C: 7D960E3F
	v_subrev_u32_e32 v5, s63, v7                               // 000000002D30: 6C0A0E3F
	s_nop 0                                                    // 000000002D34: BF800000
	v_cndmask_b32_e32 v4, v4, v6, vcc                          // 000000002D38: 00080D04
	v_cndmask_b32_e32 v7, v7, v5, vcc                          // 000000002D3C: 000E0B07
	v_add_u32_e32 v5, 1, v4                                    // 000000002D40: 680A0881
	v_cmp_le_u32_e32 vcc, s63, v7                              // 000000002D44: 7D960E3F
	s_nop 1                                                    // 000000002D48: BF800001
	v_cndmask_b32_e32 v7, v4, v5, vcc                          // 000000002D4C: 000E0B04
	s_nop 3                                                    // 000000002D50: BF800003
	v_readfirstlane_b32 s62, v7                                // 000000002D54: 7E7C0507
	s_nop 3                                                    // 000000002D58: BF800003
	s_lshl_b32 s62, s62, 5                                     // 000000002D5C: 8E3E853E
	s_mov_b32 s47, 0                                           // 000000002D60: BEAF0080

0000000000002d64 <label_0059>:
	s_cmp_lt_i32 s49, s62                                      // 000000002D64: BF043E31
	s_cbranch_scc1 label_005E                                  // 000000002D68: BF850003
	s_sub_i32 s49, s49, s62                                    // 000000002D6C: 81B13E31
	s_add_i32 s47, s47, 32                                     // 000000002D70: 812FA02F
	s_branch label_0059                                        // 000000002D74: BF82FFFB

0000000000002d78 <label_005E>:
	s_sub_i32 s50, s50, s47                                    // 000000002D78: 81B22F32
	s_cmp_lt_i32 s50, 32                                       // 000000002D7C: BF04A032
	s_cbranch_scc1 label_0064                                  // 000000002D80: BF850003
	s_lshr_b32 s48, s49, 5                                     // 000000002D84: 8F308531
	s_and_b32 s62, s49, 31                                     // 000000002D88: 863E9F31
	s_branch label_0084                                        // 000000002D8C: BF820020

0000000000002d90 <label_0064>:
	v_cvt_f32_u32_e32 v4, s50                                  // 000000002D90: 7E080C32
	s_sub_i32 s48, 0, s50                                      // 000000002D94: 81B03280
	v_rcp_iflag_f32_e32 v4, v4                                 // 000000002D98: 7E084704
	s_nop 0                                                    // 000000002D9C: BF800000
	v_mul_f32_e32 v4, 0x4f7ffffe, v4                           // 000000002DA0: 0A0808FF 4F7FFFFE
	v_cvt_u32_f32_e32 v4, v4                                   // 000000002DA8: 7E080F04
	v_mul_lo_u32 v5, s48, v4                                   // 000000002DAC: D2850005 00020830
	v_mul_hi_u32 v5, v4, v5                                    // 000000002DB4: D2860005 00020B04
	v_add_u32_e32 v4, v4, v5                                   // 000000002DBC: 68080B04
	v_mul_hi_u32 v4, s49, v4                                   // 000000002DC0: D2860004 00020831
	v_mul_lo_u32 v5, v4, s50                                   // 000000002DC8: D2850005 00006504
	v_sub_u32_e32 v7, s49, v5                                  // 000000002DD0: 6A0E0A31
	v_add_u32_e32 v6, 1, v4                                    // 000000002DD4: 680C0881
	v_cmp_le_u32_e32 vcc, s50, v7                              // 000000002DD8: 7D960E32
	v_subrev_u32_e32 v5, s50, v7                               // 000000002DDC: 6C0A0E32
	s_nop 0                                                    // 000000002DE0: BF800000
	v_cndmask_b32_e32 v4, v4, v6, vcc                          // 000000002DE4: 00080D04
	v_cndmask_b32_e32 v7, v7, v5, vcc                          // 000000002DE8: 000E0B07
	v_add_u32_e32 v5, 1, v4                                    // 000000002DEC: 680A0881
	v_cmp_le_u32_e32 vcc, s50, v7                              // 000000002DF0: 7D960E32
	s_nop 1                                                    // 000000002DF4: BF800001
	v_cndmask_b32_e32 v7, v4, v5, vcc                          // 000000002DF8: 000E0B04
	s_nop 3                                                    // 000000002DFC: BF800003
	v_readfirstlane_b32 s48, v7                                // 000000002E00: 7E600507
	s_nop 3                                                    // 000000002E04: BF800003
	s_mul_i32 s62, s50, s48                                    // 000000002E08: 923E3032
	s_sub_i32 s62, s49, s62                                    // 000000002E0C: 81BE3E31

0000000000002e10 <label_0084>:
	s_add_i32 s47, s62, s47                                    // 000000002E10: 812F2F3E
	s_lshr_b32 s37, s37, 1                                     // 000000002E14: 8F258125
	s_mul_i32 s62, s48, 0xa0                                   // 000000002E18: 923EFF30 000000A0
	s_mul_hi_u32 s63, s37, s62                                 // 000000002E20: 963F3E25
	s_add_u32 s13, s13, s63                                    // 000000002E24: 800D3F0D
	s_mul_i32 s63, s37, s62                                    // 000000002E28: 923F3E25
	s_add_u32 s12, s12, s63                                    // 000000002E2C: 800C3F0C
	s_addc_u32 s13, s13, 0                                     // 000000002E30: 820D800D
	s_sub_i32 s63, s43, s62                                    // 000000002E34: 81BF3E2B
	s_cmp_lt_u32 s63, 0xa0                                     // 000000002E38: BF0AFF3F 000000A0
	s_cselect_b32 s62, s63, 0xa0                               // 000000002E40: 853EFF3F 000000A0
	s_mul_i32 s14, s37, s62                                    // 000000002E48: 920E3E25
	s_mov_b32 s15, 0x20000                                     // 000000002E4C: BE8F00FF 00020000
	v_lshrrev_b32_e32 v4, 3, v0                                // 000000002E54: 20080083
	v_lshrrev_b32_e32 v5, 2, v4                                // 000000002E58: 200A0882
	v_lshlrev_b32_e32 v5, 4, v5                                // 000000002E5C: 240A0A84
	v_and_b32_e32 v4, 3, v4                                    // 000000002E60: 26080883
	v_lshrrev_b32_e32 v6, 1, v4                                // 000000002E64: 200C0881
	v_lshlrev_b32_e32 v6, 2, v6                                // 000000002E68: 240C0C82
	v_add_u32_e32 v5, v5, v6                                   // 000000002E6C: 680A0D05
	v_and_b32_e32 v4, 1, v4                                    // 000000002E70: 26080881
	v_add_u32_e32 v5, v5, v4                                   // 000000002E74: 680A0905
	v_mul_lo_u32 v161, s37, v5                                 // 000000002E78: D28500A1 00020A25
	v_and_b32_e32 v4, 7, v0                                    // 000000002E80: 26080087
	v_lshlrev_b32_e32 v4, 4, v4                                // 000000002E84: 24080884
	v_add_u32_e32 v161, v4, v161                               // 000000002E88: 69434304
	s_lshr_b32 s62, s46, 1                                     // 000000002E8C: 8F3E812E
	s_mul_i32 s62, s62, 8                                      // 000000002E90: 923E883E
	s_and_b32 s63, s46, 1                                      // 000000002E94: 863F812E
	s_mul_i32 s63, s63, 2                                      // 000000002E98: 923F823F
	s_add_u32 s62, s62, s63                                    // 000000002E9C: 803E3F3E
	s_mul_i32 s62, s37, s62                                    // 000000002EA0: 923E3E25
	v_add_u32_e32 v161, s62, v161                              // 000000002EA4: 6943423E
	s_mul_i32 s62, s37, 32                                     // 000000002EA8: 923EA025
	v_add_u32_e32 v162, s62, v161                              // 000000002EAC: 6945423E
	v_add_u32_e32 v163, s62, v162                              // 000000002EB0: 6947443E
	v_add_u32_e32 v164, s62, v163                              // 000000002EB4: 6949463E
	v_add_u32_e32 v165, s62, v164                              // 000000002EB8: 694B483E
	s_mul_i32 s64, 0x420, s46                                  // 000000002EBC: 92402EFF 00000420
	s_add_u32 s64, 0x2000, s64                                 // 000000002EC4: 804040FF 00002000
	v_and_b32_e32 v4, 15, v0                                   // 000000002ECC: 2608008F
	v_lshrrev_b32_e32 v5, 3, v4                                // 000000002ED0: 200A0883
	v_mul_i32_i24_e32 v5, 2, v5                                // 000000002ED4: 0C0A0A82
	v_and_b32_e32 v4, 3, v0                                    // 000000002ED8: 26080083
	v_lshrrev_b32_e32 v6, 1, v4                                // 000000002EDC: 200C0881
	v_add_u32_e32 v4, v5, v6                                   // 000000002EE0: 68080D05
	v_mul_i32_i24_e32 v166, 0x420, v4                          // 000000002EE4: 0D4C08FF 00000420
	v_and_b32_e32 v4, 7, v0                                    // 000000002EEC: 26080087
	v_lshrrev_b32_e32 v5, 2, v4                                // 000000002EF0: 200A0882
	v_mul_i32_i24_e32 v5, 0x100, v5                            // 000000002EF4: 0C0A0AFF 00000100
	v_add_u32_e32 v166, v5, v166                               // 000000002EFC: 694D4D05
	v_and_b32_e32 v4, 1, v0                                    // 000000002F00: 26080081
	v_mul_i32_i24_e32 v6, 0x80, v4                             // 000000002F04: 0C0C08FF 00000080
	v_add_u32_e32 v166, v6, v166                               // 000000002F0C: 694D4D06
	v_lshrrev_b32_e32 v4, 4, v0                                // 000000002F10: 20080084
	v_mul_i32_i24_e32 v4, 16, v4                               // 000000002F14: 0C080890
	v_add_u32_e32 v166, v4, v166                               // 000000002F18: 694D4D04
	v_add_u32_e32 v166, 0x2000, v166                           // 000000002F1C: 694D4CFF 00002000
	v_add_u32_e32 v167, 0x5280, v166                           // 000000002F24: 694F4CFF 00005280
	v_add_u32_e32 v168, 0x5280, v167                           // 000000002F2C: 69514EFF 00005280
	v_add_u32_e32 v169, 0x5280, v168                           // 000000002F34: 695350FF 00005280
	s_mul_i32 s62, s48, 0xa0                                   // 000000002F3C: 923EFF30 000000A0
	s_mul_hi_u32 s63, s39, s62                                 // 000000002F44: 963F3E27
	s_add_u32 s21, s21, s63                                    // 000000002F48: 80153F15
	s_mul_i32 s63, s39, s62                                    // 000000002F4C: 923F3E27
	s_add_u32 s20, s20, s63                                    // 000000002F50: 80143F14
	s_addc_u32 s21, s21, 0                                     // 000000002F54: 82158015
	s_add_u32 s63, s43, 31                                     // 000000002F58: 803F9F2B
	s_lshr_b32 s63, s63, 5                                     // 000000002F5C: 8F3F853F
	s_lshl_b32 s63, s63, 5                                     // 000000002F60: 8E3F853F
	s_sub_i32 s63, s63, s62                                    // 000000002F64: 81BF3E3F
	s_cmp_lt_u32 s63, 0xa0                                     // 000000002F68: BF0AFF3F 000000A0
	s_cselect_b32 s62, s63, 0xa0                               // 000000002F70: 853EFF3F 000000A0
	s_mul_i32 s22, s39, s62                                    // 000000002F78: 92163E27
	s_mov_b32 s23, 0x20000                                     // 000000002F7C: BE9700FF 00020000
	v_lshlrev_b32_e32 v170, 2, v0                              // 000000002F84: 25540082
	s_mul_i32 s63, s46, 32                                     // 000000002F88: 923FA02E
	s_mul_i32 s63, s63, s39                                    // 000000002F8C: 923F273F
	v_add_u32_e32 v170, s63, v170                              // 000000002F90: 6955543F
	s_mul_i32 s63, 0x80, s39                                   // 000000002F94: 923F27FF 00000080
	v_add_u32_e32 v171, s63, v170                              // 000000002F9C: 6957543F
	s_mul_i32 s65, s46, 0x100                                  // 000000002FA0: 9241FF2E 00000100
	s_add_i32 s65, s65, 0                                      // 000000002FA8: 81418041
	v_lshlrev_b32_e32 v172, 2, v0                              // 000000002FAC: 25580082
	v_add_u32_e32 v172, 0, v172                                // 000000002FB0: 69595880
	s_lshr_b32 s38, s38, 1                                     // 000000002FB4: 8F268126
	s_mul_i32 s62, s47, 0x80                                   // 000000002FB8: 923EFF2F 00000080
	s_mul_hi_u32 s63, s38, s62                                 // 000000002FC0: 963F3E26
	s_add_u32 s17, s17, s63                                    // 000000002FC4: 80113F11
	s_mul_i32 s63, s38, s62                                    // 000000002FC8: 923F3E26
	s_add_u32 s16, s16, s63                                    // 000000002FCC: 80103F10
	s_addc_u32 s17, s17, 0                                     // 000000002FD0: 82118011
	s_sub_i32 s63, s44, s62                                    // 000000002FD4: 81BF3E2C
	s_cmp_lt_u32 s63, 0x80                                     // 000000002FD8: BF0AFF3F 00000080
	s_cselect_b32 s62, s63, 0x80                               // 000000002FE0: 853EFF3F 00000080
	s_mul_i32 s18, s38, s62                                    // 000000002FE8: 92123E26
	s_mov_b32 s19, 0x20000                                     // 000000002FEC: BE9300FF 00020000
	v_lshlrev_b32_e32 v173, 4, v0                              // 000000002FF4: 255A0084
	s_mul_i32 s63, s46, 32                                     // 000000002FF8: 923FA02E
	s_mul_i32 s62, s63, s38                                    // 000000002FFC: 923E263F
	v_add_u32_e32 v173, s62, v173                              // 000000003000: 695B5A3E
	s_mul_i32 s62, 16, s38                                     // 000000003004: 923E2690
	v_add_u32_e32 v174, s62, v173                              // 000000003008: 695D5A3E
	s_mul_i32 s62, s47, 0x80                                   // 00000000300C: 923EFF2F 00000080
	s_mul_hi_u32 s63, s40, s62                                 // 000000003014: 963F3E28
	s_add_u32 s25, s25, s63                                    // 000000003018: 80193F19
	s_mul_i32 s63, s40, s62                                    // 00000000301C: 923F3E28
	s_add_u32 s24, s24, s63                                    // 000000003020: 80183F18
	s_addc_u32 s25, s25, 0                                     // 000000003024: 82198019
	s_sub_i32 s63, s44, s62                                    // 000000003028: 81BF3E2C
	s_cmp_lt_u32 s63, 0x80                                     // 00000000302C: BF0AFF3F 00000080
	s_cselect_b32 s62, s63, 0x80                               // 000000003034: 853EFF3F 00000080
	s_mul_i32 s26, s40, s62                                    // 00000000303C: 921A3E28
	s_mov_b32 s27, 0x20000                                     // 000000003040: BE9B00FF 00020000
	v_lshlrev_b32_e32 v175, 2, v0                              // 000000003048: 255E0082
	s_mul_i32 s63, s46, 32                                     // 00000000304C: 923FA02E
	s_mul_i32 s63, s63, s40                                    // 000000003050: 923F283F
	v_add_u32_e32 v175, s63, v175                              // 000000003054: 695F5E3F
	s_mov_b32 s66, 0x80                                        // 000000003058: BEC200FF 00000080
	s_mov_b32 s67, 0x800                                       // 000000003060: BEC300FF 00000800
	s_mov_b32 s68, 0x100                                       // 000000003068: BEC400FF 00000100
	s_mov_b32 s69, 0x100                                       // 000000003070: BEC500FF 00000100
	s_mov_b32 s60, 0                                           // 000000003078: BEBC0080
	s_mov_b32 s61, s45                                         // 00000000307C: BEBD002D
	s_add_u32 m0, 0, s65                                       // 000000003080: 807C4180
	buffer_load_dword v170, s[20:23], 0 offen lds              // 000000003084: E0511000 800500AA
	v_accvgpr_write_b32 a0, 0                                  // 00000000308C: D3D94000 18000080
	v_accvgpr_write_b32 a1, 0                                  // 000000003094: D3D94001 18000080
	v_accvgpr_write_b32 a2, 0                                  // 00000000309C: D3D94002 18000080
	v_accvgpr_write_b32 a3, 0                                  // 0000000030A4: D3D94003 18000080
	v_accvgpr_write_b32 a4, 0                                  // 0000000030AC: D3D94004 18000080
	v_accvgpr_write_b32 a5, 0                                  // 0000000030B4: D3D94005 18000080
	s_add_u32 m0, 0x400, s65                                   // 0000000030BC: 807C41FF 00000400
	buffer_load_dword v171, s[20:23], 0 offen lds              // 0000000030C4: E0511000 800500AB
	v_accvgpr_write_b32 a6, 0                                  // 0000000030CC: D3D94006 18000080
	v_accvgpr_write_b32 a7, 0                                  // 0000000030D4: D3D94007 18000080
	v_accvgpr_write_b32 a8, 0                                  // 0000000030DC: D3D94008 18000080
	v_accvgpr_write_b32 a9, 0                                  // 0000000030E4: D3D94009 18000080
	v_accvgpr_write_b32 a10, 0                                 // 0000000030EC: D3D9400A 18000080
	v_accvgpr_write_b32 a11, 0                                 // 0000000030F4: D3D9400B 18000080
	s_add_u32 m0, 0, s64                                       // 0000000030FC: 807C4080
	buffer_load_dwordx4 v161, s[12:15], 0 offen lds            // 000000003100: E05D1000 800300A1
	v_accvgpr_write_b32 a12, 0                                 // 000000003108: D3D9400C 18000080
	v_accvgpr_write_b32 a13, 0                                 // 000000003110: D3D9400D 18000080
	v_accvgpr_write_b32 a14, 0                                 // 000000003118: D3D9400E 18000080
	v_accvgpr_write_b32 a15, 0                                 // 000000003120: D3D9400F 18000080
	v_accvgpr_write_b32 a16, 0                                 // 000000003128: D3D94010 18000080
	v_accvgpr_write_b32 a17, 0                                 // 000000003130: D3D94011 18000080
	s_add_u32 m0, 0x1080, s64                                  // 000000003138: 807C40FF 00001080
	buffer_load_dwordx4 v162, s[12:15], 0 offen lds            // 000000003140: E05D1000 800300A2
	v_accvgpr_write_b32 a18, 0                                 // 000000003148: D3D94012 18000080
	v_accvgpr_write_b32 a19, 0                                 // 000000003150: D3D94013 18000080
	v_accvgpr_write_b32 a20, 0                                 // 000000003158: D3D94014 18000080
	v_accvgpr_write_b32 a21, 0                                 // 000000003160: D3D94015 18000080
	v_accvgpr_write_b32 a22, 0                                 // 000000003168: D3D94016 18000080
	v_accvgpr_write_b32 a23, 0                                 // 000000003170: D3D94017 18000080
	s_add_u32 m0, 0x2100, s64                                  // 000000003178: 807C40FF 00002100
	buffer_load_dwordx4 v163, s[12:15], 0 offen lds            // 000000003180: E05D1000 800300A3
	v_accvgpr_write_b32 a24, 0                                 // 000000003188: D3D94018 18000080
	v_accvgpr_write_b32 a25, 0                                 // 000000003190: D3D94019 18000080
	v_accvgpr_write_b32 a26, 0                                 // 000000003198: D3D9401A 18000080
	v_accvgpr_write_b32 a27, 0                                 // 0000000031A0: D3D9401B 18000080
	v_accvgpr_write_b32 a28, 0                                 // 0000000031A8: D3D9401C 18000080
	v_accvgpr_write_b32 a29, 0                                 // 0000000031B0: D3D9401D 18000080
	s_add_u32 m0, 0x3180, s64                                  // 0000000031B8: 807C40FF 00003180
	buffer_load_dwordx4 v164, s[12:15], 0 offen lds            // 0000000031C0: E05D1000 800300A4
	v_accvgpr_write_b32 a30, 0                                 // 0000000031C8: D3D9401E 18000080
	v_accvgpr_write_b32 a31, 0                                 // 0000000031D0: D3D9401F 18000080
	v_accvgpr_write_b32 a32, 0                                 // 0000000031D8: D3D94020 18000080
	v_accvgpr_write_b32 a33, 0                                 // 0000000031E0: D3D94021 18000080
	v_accvgpr_write_b32 a34, 0                                 // 0000000031E8: D3D94022 18000080
	v_accvgpr_write_b32 a35, 0                                 // 0000000031F0: D3D94023 18000080
	s_add_u32 m0, 0x4200, s64                                  // 0000000031F8: 807C40FF 00004200
	buffer_load_dwordx4 v165, s[12:15], 0 offen lds            // 000000003200: E05D1000 800300A5
	v_accvgpr_write_b32 a36, 0                                 // 000000003208: D3D94024 18000080
	v_accvgpr_write_b32 a37, 0                                 // 000000003210: D3D94025 18000080
	v_accvgpr_write_b32 a38, 0                                 // 000000003218: D3D94026 18000080
	v_accvgpr_write_b32 a39, 0                                 // 000000003220: D3D94027 18000080
	v_accvgpr_write_b32 a40, 0                                 // 000000003228: D3D94028 18000080
	v_accvgpr_write_b32 a41, 0                                 // 000000003230: D3D94029 18000080
	buffer_load_dwordx4 v[88:91], v173, s[16:19], 0 offen      // 000000003238: E05C1000 800458AD
	v_accvgpr_write_b32 a42, 0                                 // 000000003240: D3D9402A 18000080
	v_accvgpr_write_b32 a43, 0                                 // 000000003248: D3D9402B 18000080
	v_accvgpr_write_b32 a44, 0                                 // 000000003250: D3D9402C 18000080
	v_accvgpr_write_b32 a45, 0                                 // 000000003258: D3D9402D 18000080
	v_accvgpr_write_b32 a46, 0                                 // 000000003260: D3D9402E 18000080
	v_accvgpr_write_b32 a47, 0                                 // 000000003268: D3D9402F 18000080
	buffer_load_dwordx4 v[92:95], v174, s[16:19], 0 offen      // 000000003270: E05C1000 80045CAE
	v_accvgpr_write_b32 a48, 0                                 // 000000003278: D3D94030 18000080
	v_accvgpr_write_b32 a49, 0                                 // 000000003280: D3D94031 18000080
	v_accvgpr_write_b32 a50, 0                                 // 000000003288: D3D94032 18000080
	v_accvgpr_write_b32 a51, 0                                 // 000000003290: D3D94033 18000080
	v_accvgpr_write_b32 a52, 0                                 // 000000003298: D3D94034 18000080
	v_accvgpr_write_b32 a53, 0                                 // 0000000032A0: D3D94035 18000080
	buffer_load_dwordx4 v[96:99], v173, s[16:19], 0 offen offset:1024// 0000000032A8: E05C1400 800460AD
	v_accvgpr_write_b32 a54, 0                                 // 0000000032B0: D3D94036 18000080
	v_accvgpr_write_b32 a55, 0                                 // 0000000032B8: D3D94037 18000080
	v_accvgpr_write_b32 a56, 0                                 // 0000000032C0: D3D94038 18000080
	v_accvgpr_write_b32 a57, 0                                 // 0000000032C8: D3D94039 18000080
	v_accvgpr_write_b32 a58, 0                                 // 0000000032D0: D3D9403A 18000080
	v_accvgpr_write_b32 a59, 0                                 // 0000000032D8: D3D9403B 18000080
	buffer_load_dwordx4 v[100:103], v174, s[16:19], 0 offen offset:1024// 0000000032E0: E05C1400 800464AE
	v_accvgpr_write_b32 a60, 0                                 // 0000000032E8: D3D9403C 18000080
	v_accvgpr_write_b32 a61, 0                                 // 0000000032F0: D3D9403D 18000080
	v_accvgpr_write_b32 a62, 0                                 // 0000000032F8: D3D9403E 18000080
	v_accvgpr_write_b32 a63, 0                                 // 000000003300: D3D9403F 18000080
	v_accvgpr_write_b32 a64, 0                                 // 000000003308: D3D94040 18000080
	v_accvgpr_write_b32 a65, 0                                 // 000000003310: D3D94041 18000080
	buffer_load_dword v157, v175, s[24:27], 0 offen            // 000000003318: E0501000 80069DAF
	v_accvgpr_write_b32 a66, 0                                 // 000000003320: D3D94042 18000080
	v_accvgpr_write_b32 a67, 0                                 // 000000003328: D3D94043 18000080
	v_accvgpr_write_b32 a68, 0                                 // 000000003330: D3D94044 18000080
	v_accvgpr_write_b32 a69, 0                                 // 000000003338: D3D94045 18000080
	v_accvgpr_write_b32 a70, 0                                 // 000000003340: D3D94046 18000080
	v_accvgpr_write_b32 a71, 0                                 // 000000003348: D3D94047 18000080
	s_add_u32 s62, 0x100, s60                                  // 000000003350: 803E3CFF 00000100
	s_cmp_lt_u32 s62, s61                                      // 000000003358: BF0A3D3E
	s_cselect_b32 s66, s66, 0                                  // 00000000335C: 85428042
	s_cselect_b32 s68, s68, 0                                  // 000000003360: 85448044
	s_add_u32 s12, s12, s66                                    // 000000003364: 800C420C
	s_addc_u32 s13, 0, s13                                     // 000000003368: 820D0D80
	s_sub_u32 s14, s14, s66                                    // 00000000336C: 808E420E
	s_add_u32 s20, s20, s68                                    // 000000003370: 80144414
	s_addc_u32 s21, 0, s21                                     // 000000003374: 82151580
	s_sub_u32 s22, s22, s68                                    // 000000003378: 80964416
	s_add_u32 s63, 0x100, s60                                  // 00000000337C: 803F3CFF 00000100
	s_cmp_lt_u32 s63, s61                                      // 000000003384: BF0A3D3F
	s_cselect_b32 s67, s67, 0                                  // 000000003388: 85438043
	s_cselect_b32 s69, s69, 0                                  // 00000000338C: 85458045
	s_add_u32 s16, s16, s67                                    // 000000003390: 80104310
	s_addc_u32 s17, 0, s17                                     // 000000003394: 82111180
	s_sub_u32 s18, s18, s67                                    // 000000003398: 80924312
	s_add_u32 s24, s24, s69                                    // 00000000339C: 80184518
	s_addc_u32 s25, 0, s25                                     // 0000000033A0: 82191980
	s_sub_u32 s26, s26, s69                                    // 0000000033A4: 809A451A
	s_add_u32 m0, 0x800, s65                                   // 0000000033A8: 807C41FF 00000800
	buffer_load_dword v170, s[20:23], 0 offen lds              // 0000000033B0: E0511000 800500AA
	v_accvgpr_write_b32 a72, 0                                 // 0000000033B8: D3D94048 18000080
	v_accvgpr_write_b32 a73, 0                                 // 0000000033C0: D3D94049 18000080
	v_accvgpr_write_b32 a74, 0                                 // 0000000033C8: D3D9404A 18000080
	v_accvgpr_write_b32 a75, 0                                 // 0000000033D0: D3D9404B 18000080
	v_accvgpr_write_b32 a76, 0                                 // 0000000033D8: D3D9404C 18000080
	v_accvgpr_write_b32 a77, 0                                 // 0000000033E0: D3D9404D 18000080
	s_add_u32 m0, 0xc00, s65                                   // 0000000033E8: 807C41FF 00000C00
	buffer_load_dword v171, s[20:23], 0 offen lds              // 0000000033F0: E0511000 800500AB
	v_accvgpr_write_b32 a78, 0                                 // 0000000033F8: D3D9404E 18000080
	v_accvgpr_write_b32 a79, 0                                 // 000000003400: D3D9404F 18000080
	s_add_u32 m0, 0x5280, s64                                  // 000000003408: 807C40FF 00005280
	buffer_load_dwordx4 v161, s[12:15], 0 offen lds            // 000000003410: E05D1000 800300A1
	s_add_u32 m0, 0x6300, s64                                  // 000000003418: 807C40FF 00006300
	buffer_load_dwordx4 v162, s[12:15], 0 offen lds            // 000000003420: E05D1000 800300A2
	s_add_u32 m0, 0x7380, s64                                  // 000000003428: 807C40FF 00007380
	buffer_load_dwordx4 v163, s[12:15], 0 offen lds            // 000000003430: E05D1000 800300A3
	s_add_u32 m0, 0x8400, s64                                  // 000000003438: 807C40FF 00008400
	buffer_load_dwordx4 v164, s[12:15], 0 offen lds            // 000000003440: E05D1000 800300A4
	s_add_u32 m0, 0x9480, s64                                  // 000000003448: 807C40FF 00009480
	buffer_load_dwordx4 v165, s[12:15], 0 offen lds            // 000000003450: E05D1000 800300A5
	buffer_load_dwordx4 v[104:107], v173, s[16:19], 0 offen    // 000000003458: E05C1000 800468AD
	buffer_load_dwordx4 v[108:111], v174, s[16:19], 0 offen    // 000000003460: E05C1000 80046CAE
	buffer_load_dwordx4 v[112:115], v173, s[16:19], 0 offen offset:1024// 000000003468: E05C1400 800470AD
	buffer_load_dwordx4 v[116:119], v174, s[16:19], 0 offen offset:1024// 000000003470: E05C1400 800474AE
	buffer_load_dword v158, v175, s[24:27], 0 offen            // 000000003478: E0501000 80069EAF
	s_add_u32 s62, 0x200, s60                                  // 000000003480: 803E3CFF 00000200
	s_cmp_lt_u32 s62, s61                                      // 000000003488: BF0A3D3E
	s_cselect_b32 s66, s66, 0                                  // 00000000348C: 85428042
	s_cselect_b32 s68, s68, 0                                  // 000000003490: 85448044
	s_add_u32 s12, s12, s66                                    // 000000003494: 800C420C
	s_addc_u32 s13, 0, s13                                     // 000000003498: 820D0D80
	s_sub_u32 s14, s14, s66                                    // 00000000349C: 808E420E
	s_add_u32 s20, s20, s68                                    // 0000000034A0: 80144414
	s_addc_u32 s21, 0, s21                                     // 0000000034A4: 82151580
	s_sub_u32 s22, s22, s68                                    // 0000000034A8: 80964416
	s_add_u32 s63, 0x200, s60                                  // 0000000034AC: 803F3CFF 00000200
	s_cmp_lt_u32 s63, s61                                      // 0000000034B4: BF0A3D3F
	s_cselect_b32 s67, s67, 0                                  // 0000000034B8: 85438043
	s_cselect_b32 s69, s69, 0                                  // 0000000034BC: 85458045
	s_add_u32 s16, s16, s67                                    // 0000000034C0: 80104310
	s_addc_u32 s17, 0, s17                                     // 0000000034C4: 82111180
	s_sub_u32 s18, s18, s67                                    // 0000000034C8: 80924312
	s_add_u32 s24, s24, s69                                    // 0000000034CC: 80184518
	s_addc_u32 s25, 0, s25                                     // 0000000034D0: 82191980
	s_sub_u32 s26, s26, s69                                    // 0000000034D4: 809A451A
	s_add_u32 m0, 0x1000, s65                                  // 0000000034D8: 807C41FF 00001000
	buffer_load_dword v170, s[20:23], 0 offen lds              // 0000000034E0: E0511000 800500AA
	s_add_u32 m0, 0x1400, s65                                  // 0000000034E8: 807C41FF 00001400
	buffer_load_dword v171, s[20:23], 0 offen lds              // 0000000034F0: E0511000 800500AB
	s_add_u32 m0, 0xa500, s64                                  // 0000000034F8: 807C40FF 0000A500
	buffer_load_dwordx4 v161, s[12:15], 0 offen lds            // 000000003500: E05D1000 800300A1
	s_add_u32 m0, 0xb580, s64                                  // 000000003508: 807C40FF 0000B580
	buffer_load_dwordx4 v162, s[12:15], 0 offen lds            // 000000003510: E05D1000 800300A2
	s_add_u32 m0, 0xc600, s64                                  // 000000003518: 807C40FF 0000C600
	buffer_load_dwordx4 v163, s[12:15], 0 offen lds            // 000000003520: E05D1000 800300A3
	s_add_u32 m0, 0xd680, s64                                  // 000000003528: 807C40FF 0000D680
	buffer_load_dwordx4 v164, s[12:15], 0 offen lds            // 000000003530: E05D1000 800300A4
	s_add_u32 m0, 0xe700, s64                                  // 000000003538: 807C40FF 0000E700
	buffer_load_dwordx4 v165, s[12:15], 0 offen lds            // 000000003540: E05D1000 800300A5
	buffer_load_dwordx4 v[120:123], v173, s[16:19], 0 offen    // 000000003548: E05C1000 800478AD
	buffer_load_dwordx4 v[124:127], v174, s[16:19], 0 offen    // 000000003550: E05C1000 80047CAE
	buffer_load_dwordx4 v[128:131], v173, s[16:19], 0 offen offset:1024// 000000003558: E05C1400 800480AD
	buffer_load_dwordx4 v[132:135], v174, s[16:19], 0 offen offset:1024// 000000003560: E05C1400 800484AE
	buffer_load_dword v159, v175, s[24:27], 0 offen            // 000000003568: E0501000 80069FAF
	s_add_u32 s62, 0x300, s60                                  // 000000003570: 803E3CFF 00000300
	s_cmp_lt_u32 s62, s61                                      // 000000003578: BF0A3D3E
	s_cselect_b32 s66, s66, 0                                  // 00000000357C: 85428042
	s_cselect_b32 s68, s68, 0                                  // 000000003580: 85448044
	s_add_u32 s12, s12, s66                                    // 000000003584: 800C420C
	s_addc_u32 s13, 0, s13                                     // 000000003588: 820D0D80
	s_sub_u32 s14, s14, s66                                    // 00000000358C: 808E420E
	s_add_u32 s20, s20, s68                                    // 000000003590: 80144414
	s_addc_u32 s21, 0, s21                                     // 000000003594: 82151580
	s_sub_u32 s22, s22, s68                                    // 000000003598: 80964416
	s_add_u32 s63, 0x300, s60                                  // 00000000359C: 803F3CFF 00000300
	s_cmp_lt_u32 s63, s61                                      // 0000000035A4: BF0A3D3F
	s_cselect_b32 s67, s67, 0                                  // 0000000035A8: 85438043
	s_cselect_b32 s69, s69, 0                                  // 0000000035AC: 85458045
	s_add_u32 s16, s16, s67                                    // 0000000035B0: 80104310
	s_addc_u32 s17, 0, s17                                     // 0000000035B4: 82111180
	s_sub_u32 s18, s18, s67                                    // 0000000035B8: 80924312
	s_add_u32 s24, s24, s69                                    // 0000000035BC: 80184518
	s_addc_u32 s25, 0, s25                                     // 0000000035C0: 82191980
	s_sub_u32 s26, s26, s69                                    // 0000000035C4: 809A451A
	s_waitcnt vmcnt(32)                                        // 0000000035C8: BF8C8F70
	s_barrier                                                  // 0000000035CC: BF8A0000
	ds_read_b128 v[8:11], v166                                 // 0000000035D0: D9FE0000 080000A6
	ds_read_b128 v[16:19], v166 offset:64                      // 0000000035D8: D9FE0040 100000A6
	ds_read_b128 v[12:15], v166 offset:512                     // 0000000035E0: D9FE0200 0C0000A6
	ds_read_b128 v[20:23], v166 offset:576                     // 0000000035E8: D9FE0240 140000A6
	ds_read_b32 v152, v172                                     // 0000000035F0: D86C0000 980000AC
	ds_read_b128 v[24:27], v166 offset:4224                    // 0000000035F8: D9FE1080 180000A6
	ds_read_b128 v[32:35], v166 offset:4288                    // 000000003600: D9FE10C0 200000A6
	ds_read_b128 v[28:31], v166 offset:4736                    // 000000003608: D9FE1280 1C0000A6
	ds_read_b128 v[36:39], v166 offset:4800                    // 000000003610: D9FE12C0 240000A6
	ds_read_b32 v153, v172 offset:256                          // 000000003618: D86C0100 990000AC
	s_nop 0                                                    // 000000003620: BF800000
	s_nop 0                                                    // 000000003624: BF800000
	;; [unrolled: 1-line block ×3, first 2 shown]
	s_nop 0                                                    // 00000000362C: BF800000
	s_nop 0                                                    // 000000003630: BF800000
	s_lshl_b32 s36, s36, 1                                     // 000000003634: 8E248124
	s_mul_i32 s62, s48, 0xa0                                   // 000000003638: 923EFF30 000000A0
	s_mul_hi_u32 s63, s36, s62                                 // 000000003640: 963F3E24
	s_add_u32 s5, s5, s63                                      // 000000003644: 80053F05
	s_mul_i32 s63, s36, s62                                    // 000000003648: 923F3E24
	s_add_u32 s4, s4, s63                                      // 00000000364C: 80043F04
	s_addc_u32 s5, s5, 0                                       // 000000003650: 82058005
	s_mul_i32 s63, s47, 0x80                                   // 000000003654: 923FFF2F 00000080
	s_lshl_b32 s63, s63, 1                                     // 00000000365C: 8E3F813F
	s_add_u32 s4, s4, s63                                      // 000000003660: 80043F04
	s_addc_u32 s5, s5, 0                                       // 000000003664: 82058005
	s_sub_i32 s62, s43, s62                                    // 000000003668: 81BE3E2B
	s_cmp_lt_u32 s62, 0xa0                                     // 00000000366C: BF0AFF3E 000000A0
	s_cselect_b32 s62, s62, 0xa0                               // 000000003674: 853EFF3E 000000A0
	s_mul_i32 s62, s36, s62                                    // 00000000367C: 923E3E24
	s_sub_i32 s6, s62, s63                                     // 000000003680: 81863F3E
	s_mov_b32 s7, 0x20000                                      // 000000003684: BE8700FF 00020000
	s_mul_i32 s62, s46, 32                                     // 00000000368C: 923EA02E
	s_lshl_b32 s62, s62, 1                                     // 000000003690: 8E3E813E
	v_lshrrev_b32_e32 v4, 5, v0                                // 000000003694: 20080085
	v_mul_i32_i24_e32 v4, 16, v4                               // 000000003698: 0C080890
	v_lshrrev_b32_e32 v5, 4, v0                                // 00000000369C: 200A0084
	v_and_b32_e32 v5, 1, v5                                    // 0000000036A0: 260A0A81
	v_mul_i32_i24_e32 v5, 32, v5                               // 0000000036A4: 0C0A0AA0
	v_add_u32_e32 v4, v4, v5                                   // 0000000036A8: 68080B04
	v_and_b32_e32 v5, 15, v0                                   // 0000000036AC: 260A008F
	v_mul_lo_u32 v176, s36, v5                                 // 0000000036B0: D28500B0 00020A24
	v_add_u32_e32 v176, s62, v176                              // 0000000036B8: 6961603E
	v_add_u32_e32 v176, v4, v176                               // 0000000036BC: 69616104
	s_cmp_lt_i32 s46, 2                                        // 0000000036C0: BF04822E
	s_cbranch_scc0 label_0711                                  // 0000000036C4: BF84045F

00000000000036c8 <label_02B2>:
	s_waitcnt vmcnt(24) lgkmcnt(5)                             // 0000000036C8: BF8C4578
	s_barrier                                                  // 0000000036CC: BF8A0000
	v_mfma_scale_f32_16x16x128_f8f6f4 a[0:3], v[88:91], v[8:11], a[0:3], v157, v152 op_sel_hi:[0,0,0] cbsz:4 blgp:4// 0000000036D0: D3AC6000 0003319D D3AD8C00 84021158
	ds_read_b128 v[40:43], v166 offset:8448                    // 0000000036E0: D9FE2100 280000A6
	v_mfma_scale_f32_16x16x128_f8f6f4 a[4:7], v[88:91], v[12:15], a[4:7], v157, v152 op_sel_hi:[0,0,0] cbsz:4 blgp:4// 0000000036E8: D3AC7000 0003319D D3AD8C04 84121958
	s_add_u32 m0, 0x1800, s65                                  // 0000000036F8: 807C41FF 00001800
	buffer_load_dword v170, s[20:23], 0 offen lds              // 000000003700: E0511000 800500AA
	v_mfma_scale_f32_16x16x128_f8f6f4 a[8:11], v[92:95], v[8:11], a[8:11], v157, v152 op_sel_hi:[0,0,0] cbsz:4 blgp:4// 000000003708: D3AC6800 0003319D D3AD8C08 8422115C
	ds_read_b128 v[48:51], v166 offset:8512                    // 000000003718: D9FE2140 300000A6
	v_mfma_scale_f32_16x16x128_f8f6f4 a[12:15], v[92:95], v[12:15], a[12:15], v157, v152 op_sel_hi:[0,0,0] cbsz:4 blgp:4// 000000003720: D3AC7800 0003319D D3AD8C0C 8432195C
	s_add_u32 m0, 0x1c00, s65                                  // 000000003730: 807C41FF 00001C00
	buffer_load_dword v171, s[20:23], 0 offen lds              // 000000003738: E0511000 800500AB
	v_mfma_scale_f32_16x16x128_f8f6f4 a[0:3], v[96:99], v[16:19], a[0:3], v157, v152 op_sel_hi:[0,0,0] cbsz:4 blgp:4// 000000003740: D3AC6000 1803319D D3AD8C00 84022160
	ds_read_b128 v[44:47], v166 offset:8960                    // 000000003750: D9FE2300 2C0000A6
	v_mfma_scale_f32_16x16x128_f8f6f4 a[4:7], v[96:99], v[20:23], a[4:7], v157, v152 op_sel_hi:[0,0,0] cbsz:4 blgp:4// 000000003758: D3AC7000 1803319D D3AD8C04 84122960
	s_add_u32 m0, 0xf780, s64                                  // 000000003768: 807C40FF 0000F780
	buffer_load_dwordx4 v161, s[12:15], 0 offen lds            // 000000003770: E05D1000 800300A1
	v_mfma_scale_f32_16x16x128_f8f6f4 a[8:11], v[100:103], v[16:19], a[8:11], v157, v152 op_sel_hi:[0,0,0] cbsz:4 blgp:4// 000000003778: D3AC6800 1803319D D3AD8C08 84222164
	ds_read_b128 v[52:55], v166 offset:9024                    // 000000003788: D9FE2340 340000A6
	v_mfma_scale_f32_16x16x128_f8f6f4 a[12:15], v[100:103], v[20:23], a[12:15], v157, v152 op_sel_hi:[0,0,0] cbsz:4 blgp:4// 000000003790: D3AC7800 1803319D D3AD8C0C 84322964
	s_add_u32 m0, 0x10800, s64                                 // 0000000037A0: 807C40FF 00010800
	buffer_load_dwordx4 v162, s[12:15], 0 offen lds            // 0000000037A8: E05D1000 800300A2
	ds_read_b32 v154, v172 offset:512                          // 0000000037B0: D86C0200 9A0000AC
	s_waitcnt lgkmcnt(5)                                       // 0000000037B8: BF8CC57F
	v_mfma_scale_f32_16x16x128_f8f6f4 a[16:19], v[88:91], v[24:27], a[16:19], v157, v153 op_sel_hi:[0,0,0] cbsz:4 blgp:4// 0000000037BC: D3AC6000 0003339D D3AD8C10 84423158
	ds_read_b128 v[56:59], v166 offset:12672                   // 0000000037CC: D9FE3180 380000A6
	v_mfma_scale_f32_16x16x128_f8f6f4 a[20:23], v[88:91], v[28:31], a[20:23], v157, v153 op_sel_hi:[0,0,0] cbsz:4 blgp:4// 0000000037D4: D3AC7000 0003339D D3AD8C14 84523958
	s_add_u32 m0, 0x11880, s64                                 // 0000000037E4: 807C40FF 00011880
	buffer_load_dwordx4 v163, s[12:15], 0 offen lds            // 0000000037EC: E05D1000 800300A3
	v_mfma_scale_f32_16x16x128_f8f6f4 a[24:27], v[92:95], v[24:27], a[24:27], v157, v153 op_sel_hi:[0,0,0] cbsz:4 blgp:4// 0000000037F4: D3AC6800 0003339D D3AD8C18 8462315C
	ds_read_b128 v[64:67], v166 offset:12736                   // 000000003804: D9FE31C0 400000A6
	v_mfma_scale_f32_16x16x128_f8f6f4 a[28:31], v[92:95], v[28:31], a[28:31], v157, v153 op_sel_hi:[0,0,0] cbsz:4 blgp:4// 00000000380C: D3AC7800 0003339D D3AD8C1C 8472395C
	s_add_u32 m0, 0x12900, s64                                 // 00000000381C: 807C40FF 00012900
	buffer_load_dwordx4 v164, s[12:15], 0 offen lds            // 000000003824: E05D1000 800300A4
	v_mfma_scale_f32_16x16x128_f8f6f4 a[16:19], v[96:99], v[32:35], a[16:19], v157, v153 op_sel_hi:[0,0,0] cbsz:4 blgp:4// 00000000382C: D3AC6000 1803339D D3AD8C10 84424160
	ds_read_b128 v[60:63], v166 offset:13184                   // 00000000383C: D9FE3380 3C0000A6
	v_mfma_scale_f32_16x16x128_f8f6f4 a[20:23], v[96:99], v[36:39], a[20:23], v157, v153 op_sel_hi:[0,0,0] cbsz:4 blgp:4// 000000003844: D3AC7000 1803339D D3AD8C14 84524960
	s_add_u32 m0, 0x13980, s64                                 // 000000003854: 807C40FF 00013980
	buffer_load_dwordx4 v165, s[12:15], 0 offen lds            // 00000000385C: E05D1000 800300A5
	v_mfma_scale_f32_16x16x128_f8f6f4 a[24:27], v[100:103], v[32:35], a[24:27], v157, v153 op_sel_hi:[0,0,0] cbsz:4 blgp:4// 000000003864: D3AC6800 1803339D D3AD8C18 84624164
	s_add_u32 s62, 0x400, s60                                  // 000000003874: 803E3CFF 00000400
	ds_read_b128 v[68:71], v166 offset:13248                   // 00000000387C: D9FE33C0 440000A6
	v_mfma_scale_f32_16x16x128_f8f6f4 a[28:31], v[100:103], v[36:39], a[28:31], v157, v153 op_sel_hi:[0,0,0] cbsz:4 blgp:4// 000000003884: D3AC7800 1803339D D3AD8C1C 84724964
	s_cmp_lt_u32 s62, s61                                      // 000000003894: BF0A3D3E
	s_cselect_b32 s66, s66, 0                                  // 000000003898: 85428042
	ds_read_b32 v155, v172 offset:768                          // 00000000389C: D86C0300 9B0000AC
	s_waitcnt lgkmcnt(5)                                       // 0000000038A4: BF8CC57F
	v_mfma_scale_f32_16x16x128_f8f6f4 a[32:35], v[88:91], v[40:43], a[32:35], v157, v154 op_sel_hi:[0,0,0] cbsz:4 blgp:4// 0000000038A8: D3AC6000 0003359D D3AD8C20 84825158
	s_cselect_b32 s68, s68, 0                                  // 0000000038B8: 85448044
	ds_read_b128 v[72:75], v166 offset:16896                   // 0000000038BC: D9FE4200 480000A6
	v_mfma_scale_f32_16x16x128_f8f6f4 a[36:39], v[88:91], v[44:47], a[36:39], v157, v154 op_sel_hi:[0,0,0] cbsz:4 blgp:4// 0000000038C4: D3AC7000 0003359D D3AD8C24 84925958
	s_add_u32 s12, s12, s66                                    // 0000000038D4: 800C420C
	buffer_load_dwordx4 v[136:139], v173, s[16:19], 0 offen    // 0000000038D8: E05C1000 800488AD
	v_mfma_scale_f32_16x16x128_f8f6f4 a[40:43], v[92:95], v[40:43], a[40:43], v157, v154 op_sel_hi:[0,0,0] cbsz:4 blgp:4// 0000000038E0: D3AC6800 0003359D D3AD8C28 84A2515C
	s_addc_u32 s13, 0, s13                                     // 0000000038F0: 820D0D80
	ds_read_b128 v[80:83], v166 offset:16960                   // 0000000038F4: D9FE4240 500000A6
	v_mfma_scale_f32_16x16x128_f8f6f4 a[44:47], v[92:95], v[44:47], a[44:47], v157, v154 op_sel_hi:[0,0,0] cbsz:4 blgp:4// 0000000038FC: D3AC7800 0003359D D3AD8C2C 84B2595C
	s_sub_u32 s14, s14, s66                                    // 00000000390C: 808E420E
	s_add_u32 s20, s20, s68                                    // 000000003910: 80144414
	v_mfma_scale_f32_16x16x128_f8f6f4 a[32:35], v[96:99], v[48:51], a[32:35], v157, v154 op_sel_hi:[0,0,0] cbsz:4 blgp:4// 000000003914: D3AC6000 1803359D D3AD8C20 84826160
	s_addc_u32 s21, 0, s21                                     // 000000003924: 82151580
	ds_read_b128 v[76:79], v166 offset:17408                   // 000000003928: D9FE4400 4C0000A6
	v_mfma_scale_f32_16x16x128_f8f6f4 a[36:39], v[96:99], v[52:55], a[36:39], v157, v154 op_sel_hi:[0,0,0] cbsz:4 blgp:4// 000000003930: D3AC7000 1803359D D3AD8C24 84926960
	s_sub_u32 s22, s22, s68                                    // 000000003940: 80964416
	buffer_load_dwordx4 v[140:143], v174, s[16:19], 0 offen    // 000000003944: E05C1000 80048CAE
	v_mfma_scale_f32_16x16x128_f8f6f4 a[40:43], v[100:103], v[48:51], a[40:43], v157, v154 op_sel_hi:[0,0,0] cbsz:4 blgp:4// 00000000394C: D3AC6800 1803359D D3AD8C28 84A26164
	s_add_u32 s63, 0x400, s60                                  // 00000000395C: 803F3CFF 00000400
	ds_read_b128 v[84:87], v166 offset:17472                   // 000000003964: D9FE4440 540000A6
	v_mfma_scale_f32_16x16x128_f8f6f4 a[44:47], v[100:103], v[52:55], a[44:47], v157, v154 op_sel_hi:[0,0,0] cbsz:4 blgp:4// 00000000396C: D3AC7800 1803359D D3AD8C2C 84B26964
	s_cmp_lt_u32 s63, s61                                      // 00000000397C: BF0A3D3F
	s_cselect_b32 s67, s67, 0                                  // 000000003980: 85438043
	ds_read_b32 v156, v172 offset:1024                         // 000000003984: D86C0400 9C0000AC
	s_waitcnt vmcnt(29) lgkmcnt(5)                             // 00000000398C: BF8C457D
	s_barrier                                                  // 000000003990: BF8A0000
	v_mfma_scale_f32_16x16x128_f8f6f4 a[48:51], v[88:91], v[56:59], a[48:51], v157, v155 op_sel_hi:[0,0,0] cbsz:4 blgp:4// 000000003994: D3AC6000 0003379D D3AD8C30 84C27158
	s_cselect_b32 s69, s69, 0                                  // 0000000039A4: 85458045
	ds_read_b128 v[8:11], v167                                 // 0000000039A8: D9FE0000 080000A7
	v_mfma_scale_f32_16x16x128_f8f6f4 a[52:55], v[88:91], v[60:63], a[52:55], v157, v155 op_sel_hi:[0,0,0] cbsz:4 blgp:4// 0000000039B0: D3AC7000 0003379D D3AD8C34 84D27958
	buffer_load_dwordx4 v[144:147], v173, s[16:19], 0 offen offset:1024// 0000000039C0: E05C1400 800490AD
	v_mfma_scale_f32_16x16x128_f8f6f4 a[56:59], v[92:95], v[56:59], a[56:59], v157, v155 op_sel_hi:[0,0,0] cbsz:4 blgp:4// 0000000039C8: D3AC6800 0003379D D3AD8C38 84E2715C
	ds_read_b128 v[16:19], v167 offset:64                      // 0000000039D8: D9FE0040 100000A7
	v_mfma_scale_f32_16x16x128_f8f6f4 a[60:63], v[92:95], v[60:63], a[60:63], v157, v155 op_sel_hi:[0,0,0] cbsz:4 blgp:4// 0000000039E0: D3AC7800 0003379D D3AD8C3C 84F2795C
	v_mfma_scale_f32_16x16x128_f8f6f4 a[48:51], v[96:99], v[64:67], a[48:51], v157, v155 op_sel_hi:[0,0,0] cbsz:4 blgp:4// 0000000039F0: D3AC6000 1803379D D3AD8C30 84C28160
	ds_read_b128 v[12:15], v167 offset:512                     // 000000003A00: D9FE0200 0C0000A7
	v_mfma_scale_f32_16x16x128_f8f6f4 a[52:55], v[96:99], v[68:71], a[52:55], v157, v155 op_sel_hi:[0,0,0] cbsz:4 blgp:4// 000000003A08: D3AC7000 1803379D D3AD8C34 84D28960
	buffer_load_dwordx4 v[148:151], v174, s[16:19], 0 offen offset:1024// 000000003A18: E05C1400 800494AE
	v_mfma_scale_f32_16x16x128_f8f6f4 a[56:59], v[100:103], v[64:67], a[56:59], v157, v155 op_sel_hi:[0,0,0] cbsz:4 blgp:4// 000000003A20: D3AC6800 1803379D D3AD8C38 84E28164
	ds_read_b128 v[20:23], v167 offset:576                     // 000000003A30: D9FE0240 140000A7
	v_mfma_scale_f32_16x16x128_f8f6f4 a[60:63], v[100:103], v[68:71], a[60:63], v157, v155 op_sel_hi:[0,0,0] cbsz:4 blgp:4// 000000003A38: D3AC7800 1803379D D3AD8C3C 84F28964
	ds_read_b32 v152, v172 offset:2048                         // 000000003A48: D86C0800 980000AC
	s_waitcnt lgkmcnt(5)                                       // 000000003A50: BF8CC57F
	v_mfma_scale_f32_16x16x128_f8f6f4 a[64:67], v[88:91], v[72:75], a[64:67], v157, v156 op_sel_hi:[0,0,0] cbsz:4 blgp:4// 000000003A54: D3AC6000 0003399D D3AD8C40 85029158
	ds_read_b128 v[24:27], v167 offset:4224                    // 000000003A64: D9FE1080 180000A7
	v_mfma_scale_f32_16x16x128_f8f6f4 a[68:71], v[88:91], v[76:79], a[68:71], v157, v156 op_sel_hi:[0,0,0] cbsz:4 blgp:4// 000000003A6C: D3AC7000 0003399D D3AD8C44 85129958
	buffer_load_dword v160, v175, s[24:27], 0 offen            // 000000003A7C: E0501000 8006A0AF
	v_mfma_scale_f32_16x16x128_f8f6f4 a[72:75], v[92:95], v[72:75], a[72:75], v157, v156 op_sel_hi:[0,0,0] cbsz:4 blgp:4// 000000003A84: D3AC6800 0003399D D3AD8C48 8522915C
	s_add_u32 s16, s16, s67                                    // 000000003A94: 80104310
	ds_read_b128 v[32:35], v167 offset:4288                    // 000000003A98: D9FE10C0 200000A7
	v_mfma_scale_f32_16x16x128_f8f6f4 a[76:79], v[92:95], v[76:79], a[76:79], v157, v156 op_sel_hi:[0,0,0] cbsz:4 blgp:4// 000000003AA0: D3AC7800 0003399D D3AD8C4C 8532995C
	s_addc_u32 s17, 0, s17                                     // 000000003AB0: 82111180
	s_sub_u32 s18, s18, s67                                    // 000000003AB4: 80924312
	v_mfma_scale_f32_16x16x128_f8f6f4 a[64:67], v[96:99], v[80:83], a[64:67], v157, v156 op_sel_hi:[0,0,0] cbsz:4 blgp:4// 000000003AB8: D3AC6000 1803399D D3AD8C40 8502A160
	s_add_u32 s24, s24, s69                                    // 000000003AC8: 80184518
	ds_read_b128 v[28:31], v167 offset:4736                    // 000000003ACC: D9FE1280 1C0000A7
	v_mfma_scale_f32_16x16x128_f8f6f4 a[68:71], v[96:99], v[84:87], a[68:71], v157, v156 op_sel_hi:[0,0,0] cbsz:4 blgp:4// 000000003AD4: D3AC7000 1803399D D3AD8C44 8512A960
	s_addc_u32 s25, 0, s25                                     // 000000003AE4: 82191980
	s_sub_u32 s26, s26, s69                                    // 000000003AE8: 809A451A
	v_mfma_scale_f32_16x16x128_f8f6f4 a[72:75], v[100:103], v[80:83], a[72:75], v157, v156 op_sel_hi:[0,0,0] cbsz:4 blgp:4// 000000003AEC: D3AC6800 1803399D D3AD8C48 8522A164
	s_addk_i32 s60, 0x100                                      // 000000003AFC: B73C0100
	ds_read_b128 v[36:39], v167 offset:4800                    // 000000003B00: D9FE12C0 240000A7
	v_mfma_scale_f32_16x16x128_f8f6f4 a[76:79], v[100:103], v[84:87], a[76:79], v157, v156 op_sel_hi:[0,0,0] cbsz:4 blgp:4// 000000003B08: D3AC7800 1803399D D3AD8C4C 8532A964
	s_cmp_lt_i32 s60, s61                                      // 000000003B18: BF043D3C
	ds_read_b32 v153, v172 offset:2304                         // 000000003B1C: D86C0900 990000AC
	s_cbranch_scc0 label_0B70                                  // 000000003B24: BF8407A6
	s_waitcnt vmcnt(24) lgkmcnt(5)                             // 000000003B28: BF8C4578
	s_barrier                                                  // 000000003B2C: BF8A0000
	v_mfma_scale_f32_16x16x128_f8f6f4 a[0:3], v[104:107], v[8:11], a[0:3], v158, v152 op_sel_hi:[0,0,0] cbsz:4 blgp:4// 000000003B30: D3AC6000 0003319E D3AD8C00 84021168
	ds_read_b128 v[40:43], v167 offset:8448                    // 000000003B40: D9FE2100 280000A7
	v_mfma_scale_f32_16x16x128_f8f6f4 a[4:7], v[104:107], v[12:15], a[4:7], v158, v152 op_sel_hi:[0,0,0] cbsz:4 blgp:4// 000000003B48: D3AC7000 0003319E D3AD8C04 84121968
	s_add_u32 m0, 0, s65                                       // 000000003B58: 807C4180
	buffer_load_dword v170, s[20:23], 0 offen lds              // 000000003B5C: E0511000 800500AA
	v_mfma_scale_f32_16x16x128_f8f6f4 a[8:11], v[108:111], v[8:11], a[8:11], v158, v152 op_sel_hi:[0,0,0] cbsz:4 blgp:4// 000000003B64: D3AC6800 0003319E D3AD8C08 8422116C
	ds_read_b128 v[48:51], v167 offset:8512                    // 000000003B74: D9FE2140 300000A7
	v_mfma_scale_f32_16x16x128_f8f6f4 a[12:15], v[108:111], v[12:15], a[12:15], v158, v152 op_sel_hi:[0,0,0] cbsz:4 blgp:4// 000000003B7C: D3AC7800 0003319E D3AD8C0C 8432196C
	s_add_u32 m0, 0x400, s65                                   // 000000003B8C: 807C41FF 00000400
	buffer_load_dword v171, s[20:23], 0 offen lds              // 000000003B94: E0511000 800500AB
	v_mfma_scale_f32_16x16x128_f8f6f4 a[0:3], v[112:115], v[16:19], a[0:3], v158, v152 op_sel_hi:[0,0,0] cbsz:4 blgp:4// 000000003B9C: D3AC6000 1803319E D3AD8C00 84022170
	ds_read_b128 v[44:47], v167 offset:8960                    // 000000003BAC: D9FE2300 2C0000A7
	v_mfma_scale_f32_16x16x128_f8f6f4 a[4:7], v[112:115], v[20:23], a[4:7], v158, v152 op_sel_hi:[0,0,0] cbsz:4 blgp:4// 000000003BB4: D3AC7000 1803319E D3AD8C04 84122970
	s_add_u32 m0, 0, s64                                       // 000000003BC4: 807C4080
	buffer_load_dwordx4 v161, s[12:15], 0 offen lds            // 000000003BC8: E05D1000 800300A1
	v_mfma_scale_f32_16x16x128_f8f6f4 a[8:11], v[116:119], v[16:19], a[8:11], v158, v152 op_sel_hi:[0,0,0] cbsz:4 blgp:4// 000000003BD0: D3AC6800 1803319E D3AD8C08 84222174
	ds_read_b128 v[52:55], v167 offset:9024                    // 000000003BE0: D9FE2340 340000A7
	v_mfma_scale_f32_16x16x128_f8f6f4 a[12:15], v[116:119], v[20:23], a[12:15], v158, v152 op_sel_hi:[0,0,0] cbsz:4 blgp:4// 000000003BE8: D3AC7800 1803319E D3AD8C0C 84322974
	s_add_u32 m0, 0x1080, s64                                  // 000000003BF8: 807C40FF 00001080
	buffer_load_dwordx4 v162, s[12:15], 0 offen lds            // 000000003C00: E05D1000 800300A2
	ds_read_b32 v154, v172 offset:2560                         // 000000003C08: D86C0A00 9A0000AC
	s_waitcnt lgkmcnt(5)                                       // 000000003C10: BF8CC57F
	v_mfma_scale_f32_16x16x128_f8f6f4 a[16:19], v[104:107], v[24:27], a[16:19], v158, v153 op_sel_hi:[0,0,0] cbsz:4 blgp:4// 000000003C14: D3AC6000 0003339E D3AD8C10 84423168
	ds_read_b128 v[56:59], v167 offset:12672                   // 000000003C24: D9FE3180 380000A7
	v_mfma_scale_f32_16x16x128_f8f6f4 a[20:23], v[104:107], v[28:31], a[20:23], v158, v153 op_sel_hi:[0,0,0] cbsz:4 blgp:4// 000000003C2C: D3AC7000 0003339E D3AD8C14 84523968
	s_add_u32 m0, 0x2100, s64                                  // 000000003C3C: 807C40FF 00002100
	buffer_load_dwordx4 v163, s[12:15], 0 offen lds            // 000000003C44: E05D1000 800300A3
	v_mfma_scale_f32_16x16x128_f8f6f4 a[24:27], v[108:111], v[24:27], a[24:27], v158, v153 op_sel_hi:[0,0,0] cbsz:4 blgp:4// 000000003C4C: D3AC6800 0003339E D3AD8C18 8462316C
	ds_read_b128 v[64:67], v167 offset:12736                   // 000000003C5C: D9FE31C0 400000A7
	v_mfma_scale_f32_16x16x128_f8f6f4 a[28:31], v[108:111], v[28:31], a[28:31], v158, v153 op_sel_hi:[0,0,0] cbsz:4 blgp:4// 000000003C64: D3AC7800 0003339E D3AD8C1C 8472396C
	s_add_u32 m0, 0x3180, s64                                  // 000000003C74: 807C40FF 00003180
	buffer_load_dwordx4 v164, s[12:15], 0 offen lds            // 000000003C7C: E05D1000 800300A4
	v_mfma_scale_f32_16x16x128_f8f6f4 a[16:19], v[112:115], v[32:35], a[16:19], v158, v153 op_sel_hi:[0,0,0] cbsz:4 blgp:4// 000000003C84: D3AC6000 1803339E D3AD8C10 84424170
	ds_read_b128 v[60:63], v167 offset:13184                   // 000000003C94: D9FE3380 3C0000A7
	v_mfma_scale_f32_16x16x128_f8f6f4 a[20:23], v[112:115], v[36:39], a[20:23], v158, v153 op_sel_hi:[0,0,0] cbsz:4 blgp:4// 000000003C9C: D3AC7000 1803339E D3AD8C14 84524970
	s_add_u32 m0, 0x4200, s64                                  // 000000003CAC: 807C40FF 00004200
	buffer_load_dwordx4 v165, s[12:15], 0 offen lds            // 000000003CB4: E05D1000 800300A5
	v_mfma_scale_f32_16x16x128_f8f6f4 a[24:27], v[116:119], v[32:35], a[24:27], v158, v153 op_sel_hi:[0,0,0] cbsz:4 blgp:4// 000000003CBC: D3AC4800 1803339E D3AD8C18 84624174
	s_add_u32 s62, 0x400, s60                                  // 000000003CCC: 803E3CFF 00000400
	ds_read_b128 v[68:71], v167 offset:13248                   // 000000003CD4: D9FE33C0 440000A7
	v_mfma_scale_f32_16x16x128_f8f6f4 a[28:31], v[116:119], v[36:39], a[28:31], v158, v153 op_sel_hi:[0,0,0] cbsz:4 blgp:4// 000000003CDC: D3AC7800 1803339E D3AD8C1C 84724974
	s_cmp_lt_u32 s62, s61                                      // 000000003CEC: BF0A3D3E
	s_cselect_b32 s66, s66, 0                                  // 000000003CF0: 85428042
	ds_read_b32 v155, v172 offset:2816                         // 000000003CF4: D86C0B00 9B0000AC
	s_waitcnt lgkmcnt(5)                                       // 000000003CFC: BF8CC57F
	v_mfma_scale_f32_16x16x128_f8f6f4 a[32:35], v[104:107], v[40:43], a[32:35], v158, v154 op_sel_hi:[0,0,0] cbsz:4 blgp:4// 000000003D00: D3AC6000 0003359E D3AD8C20 84825168
	s_cselect_b32 s68, s68, 0                                  // 000000003D10: 85448044
	ds_read_b128 v[72:75], v167 offset:16896                   // 000000003D14: D9FE4200 480000A7
	v_mfma_scale_f32_16x16x128_f8f6f4 a[36:39], v[104:107], v[44:47], a[36:39], v158, v154 op_sel_hi:[0,0,0] cbsz:4 blgp:4// 000000003D1C: D3AC7000 0003359E D3AD8C24 84925968
	s_add_u32 s12, s12, s66                                    // 000000003D2C: 800C420C
	buffer_load_dwordx4 v[88:91], v173, s[16:19], 0 offen      // 000000003D30: E05C1000 800458AD
	v_mfma_scale_f32_16x16x128_f8f6f4 a[40:43], v[108:111], v[40:43], a[40:43], v158, v154 op_sel_hi:[0,0,0] cbsz:4 blgp:4// 000000003D38: D3AC4800 0003359E D3AD8C28 84A2516C
	s_addc_u32 s13, 0, s13                                     // 000000003D48: 820D0D80
	ds_read_b128 v[80:83], v167 offset:16960                   // 000000003D4C: D9FE4240 500000A7
	v_mfma_scale_f32_16x16x128_f8f6f4 a[44:47], v[108:111], v[44:47], a[44:47], v158, v154 op_sel_hi:[0,0,0] cbsz:4 blgp:4// 000000003D54: D3AC7800 0003359E D3AD8C2C 84B2596C
	s_sub_u32 s14, s14, s66                                    // 000000003D64: 808E420E
	s_add_u32 s20, s20, s68                                    // 000000003D68: 80144414
	v_mfma_scale_f32_16x16x128_f8f6f4 a[32:35], v[112:115], v[48:51], a[32:35], v158, v154 op_sel_hi:[0,0,0] cbsz:4 blgp:4// 000000003D6C: D3AC6000 1803359E D3AD8C20 84826170
	s_addc_u32 s21, 0, s21                                     // 000000003D7C: 82151580
	ds_read_b128 v[76:79], v167 offset:17408                   // 000000003D80: D9FE4400 4C0000A7
	v_mfma_scale_f32_16x16x128_f8f6f4 a[36:39], v[112:115], v[52:55], a[36:39], v158, v154 op_sel_hi:[0,0,0] cbsz:4 blgp:4// 000000003D88: D3AC7000 1803359E D3AD8C24 84926970
	s_sub_u32 s22, s22, s68                                    // 000000003D98: 80964416
	buffer_load_dwordx4 v[92:95], v174, s[16:19], 0 offen      // 000000003D9C: E05C1000 80045CAE
	v_mfma_scale_f32_16x16x128_f8f6f4 a[40:43], v[116:119], v[48:51], a[40:43], v158, v154 op_sel_hi:[0,0,0] cbsz:4 blgp:4// 000000003DA4: D3AC4800 1803359E D3AD8C28 84A26174
	s_add_u32 s63, 0x400, s60                                  // 000000003DB4: 803F3CFF 00000400
	ds_read_b128 v[84:87], v167 offset:17472                   // 000000003DBC: D9FE4440 540000A7
	v_mfma_scale_f32_16x16x128_f8f6f4 a[44:47], v[116:119], v[52:55], a[44:47], v158, v154 op_sel_hi:[0,0,0] cbsz:4 blgp:4// 000000003DC4: D3AC7800 1803359E D3AD8C2C 84B26974
	s_cmp_lt_u32 s63, s61                                      // 000000003DD4: BF0A3D3F
	s_cselect_b32 s67, s67, 0                                  // 000000003DD8: 85438043
	ds_read_b32 v156, v172 offset:3072                         // 000000003DDC: D86C0C00 9C0000AC
	s_waitcnt vmcnt(29) lgkmcnt(5)                             // 000000003DE4: BF8C457D
	s_barrier                                                  // 000000003DE8: BF8A0000
	v_mfma_scale_f32_16x16x128_f8f6f4 a[48:51], v[104:107], v[56:59], a[48:51], v158, v155 op_sel_hi:[0,0,0] cbsz:4 blgp:4// 000000003DEC: D3AC6000 0003379E D3AD8C30 84C27168
	s_cselect_b32 s69, s69, 0                                  // 000000003DFC: 85458045
	ds_read_b128 v[8:11], v168                                 // 000000003E00: D9FE0000 080000A8
	v_mfma_scale_f32_16x16x128_f8f6f4 a[52:55], v[104:107], v[60:63], a[52:55], v158, v155 op_sel_hi:[0,0,0] cbsz:4 blgp:4// 000000003E08: D3AC7000 0003379E D3AD8C34 84D27968
	buffer_load_dwordx4 v[96:99], v173, s[16:19], 0 offen offset:1024// 000000003E18: E05C1400 800460AD
	v_mfma_scale_f32_16x16x128_f8f6f4 a[56:59], v[108:111], v[56:59], a[56:59], v158, v155 op_sel_hi:[0,0,0] cbsz:4 blgp:4// 000000003E20: D3AC4800 0003379E D3AD8C38 84E2716C
	ds_read_b128 v[16:19], v168 offset:64                      // 000000003E30: D9FE0040 100000A8
	v_mfma_scale_f32_16x16x128_f8f6f4 a[60:63], v[108:111], v[60:63], a[60:63], v158, v155 op_sel_hi:[0,0,0] cbsz:4 blgp:4// 000000003E38: D3AC7800 0003379E D3AD8C3C 84F2796C
	v_mfma_scale_f32_16x16x128_f8f6f4 a[48:51], v[112:115], v[64:67], a[48:51], v158, v155 op_sel_hi:[0,0,0] cbsz:4 blgp:4// 000000003E48: D3AC6000 1803379E D3AD8C30 84C28170
	ds_read_b128 v[12:15], v168 offset:512                     // 000000003E58: D9FE0200 0C0000A8
	v_mfma_scale_f32_16x16x128_f8f6f4 a[52:55], v[112:115], v[68:71], a[52:55], v158, v155 op_sel_hi:[0,0,0] cbsz:4 blgp:4// 000000003E60: D3AC7000 1803379E D3AD8C34 84D28970
	buffer_load_dwordx4 v[100:103], v174, s[16:19], 0 offen offset:1024// 000000003E70: E05C1400 800464AE
	v_mfma_scale_f32_16x16x128_f8f6f4 a[56:59], v[116:119], v[64:67], a[56:59], v158, v155 op_sel_hi:[0,0,0] cbsz:4 blgp:4// 000000003E78: D3AC2800 1803379E D3AD8C38 84E28174
	ds_read_b128 v[20:23], v168 offset:576                     // 000000003E88: D9FE0240 140000A8
	v_mfma_scale_f32_16x16x128_f8f6f4 a[60:63], v[116:119], v[68:71], a[60:63], v158, v155 op_sel_hi:[0,0,0] cbsz:4 blgp:4// 000000003E90: D3AC7800 1803379E D3AD8C3C 84F28974
	ds_read_b32 v152, v172 offset:4096                         // 000000003EA0: D86C1000 980000AC
	s_waitcnt lgkmcnt(5)                                       // 000000003EA8: BF8CC57F
	v_mfma_scale_f32_16x16x128_f8f6f4 a[64:67], v[104:107], v[72:75], a[64:67], v158, v156 op_sel_hi:[0,0,0] cbsz:4 blgp:4// 000000003EAC: D3AC6000 0003399E D3AD8C40 85029168
	ds_read_b128 v[24:27], v168 offset:4224                    // 000000003EBC: D9FE1080 180000A8
	v_mfma_scale_f32_16x16x128_f8f6f4 a[68:71], v[104:107], v[76:79], a[68:71], v158, v156 op_sel_hi:[0,0,0] cbsz:4 blgp:4// 000000003EC4: D3AC3000 0003399E D3AD8C44 85129968
	buffer_load_dword v157, v175, s[24:27], 0 offen            // 000000003ED4: E0501000 80069DAF
	v_mfma_scale_f32_16x16x128_f8f6f4 a[72:75], v[108:111], v[72:75], a[72:75], v158, v156 op_sel_hi:[0,0,0] cbsz:4 blgp:4// 000000003EDC: D3AC6800 0003399E D3AD8C48 8522916C
	s_add_u32 s16, s16, s67                                    // 000000003EEC: 80104310
	ds_read_b128 v[32:35], v168 offset:4288                    // 000000003EF0: D9FE10C0 200000A8
	v_mfma_scale_f32_16x16x128_f8f6f4 a[76:79], v[108:111], v[76:79], a[76:79], v158, v156 op_sel_hi:[0,0,0] cbsz:4 blgp:4// 000000003EF8: D3AC7800 0003399E D3AD8C4C 8532996C
	s_addc_u32 s17, 0, s17                                     // 000000003F08: 82111180
	s_sub_u32 s18, s18, s67                                    // 000000003F0C: 80924312
	v_mfma_scale_f32_16x16x128_f8f6f4 a[64:67], v[112:115], v[80:83], a[64:67], v158, v156 op_sel_hi:[0,0,0] cbsz:4 blgp:4// 000000003F10: D3AC6000 1803399E D3AD8C40 8502A170
	s_add_u32 s24, s24, s69                                    // 000000003F20: 80184518
	ds_read_b128 v[28:31], v168 offset:4736                    // 000000003F24: D9FE1280 1C0000A8
	v_mfma_scale_f32_16x16x128_f8f6f4 a[68:71], v[112:115], v[84:87], a[68:71], v158, v156 op_sel_hi:[0,0,0] cbsz:4 blgp:4// 000000003F2C: D3AC7000 1803399E D3AD8C44 8512A970
	s_addc_u32 s25, 0, s25                                     // 000000003F3C: 82191980
	s_sub_u32 s26, s26, s69                                    // 000000003F40: 809A451A
	v_mfma_scale_f32_16x16x128_f8f6f4 a[72:75], v[116:119], v[80:83], a[72:75], v158, v156 op_sel_hi:[0,0,0] cbsz:4 blgp:4// 000000003F44: D3AC6800 1803399E D3AD8C48 8522A174
	s_addk_i32 s60, 0x100                                      // 000000003F54: B73C0100
	ds_read_b128 v[36:39], v168 offset:4800                    // 000000003F58: D9FE12C0 240000A8
	v_mfma_scale_f32_16x16x128_f8f6f4 a[76:79], v[116:119], v[84:87], a[76:79], v158, v156 op_sel_hi:[0,0,0] cbsz:4 blgp:4// 000000003F60: D3AC7800 1803399E D3AD8C4C 8532A974
	s_cmp_lt_i32 s60, s61                                      // 000000003F70: BF043D3C
	ds_read_b32 v153, v172 offset:4352                         // 000000003F74: D86C1100 990000AC
	s_cbranch_scc0 label_0B70                                  // 000000003F7C: BF840690
	s_waitcnt vmcnt(24) lgkmcnt(5)                             // 000000003F80: BF8C4578
	s_barrier                                                  // 000000003F84: BF8A0000
	v_mfma_scale_f32_16x16x128_f8f6f4 a[0:3], v[120:123], v[8:11], a[0:3], v159, v152 op_sel_hi:[0,0,0] cbsz:4 blgp:4// 000000003F88: D3AC6000 0003319F D3AD8C00 84021178
	ds_read_b128 v[40:43], v168 offset:8448                    // 000000003F98: D9FE2100 280000A8
	v_mfma_scale_f32_16x16x128_f8f6f4 a[4:7], v[120:123], v[12:15], a[4:7], v159, v152 op_sel_hi:[0,0,0] cbsz:4 blgp:4// 000000003FA0: D3AC7000 0003319F D3AD8C04 84121978
	s_add_u32 m0, 0x800, s65                                   // 000000003FB0: 807C41FF 00000800
	buffer_load_dword v170, s[20:23], 0 offen lds              // 000000003FB8: E0511000 800500AA
	v_mfma_scale_f32_16x16x128_f8f6f4 a[8:11], v[124:127], v[8:11], a[8:11], v159, v152 op_sel_hi:[0,0,0] cbsz:4 blgp:4// 000000003FC0: D3AC6800 0003319F D3AD8C08 8422117C
	ds_read_b128 v[48:51], v168 offset:8512                    // 000000003FD0: D9FE2140 300000A8
	v_mfma_scale_f32_16x16x128_f8f6f4 a[12:15], v[124:127], v[12:15], a[12:15], v159, v152 op_sel_hi:[0,0,0] cbsz:4 blgp:4// 000000003FD8: D3AC7800 0003319F D3AD8C0C 8432197C
	s_add_u32 m0, 0xc00, s65                                   // 000000003FE8: 807C41FF 00000C00
	buffer_load_dword v171, s[20:23], 0 offen lds              // 000000003FF0: E0511000 800500AB
	v_mfma_scale_f32_16x16x128_f8f6f4 a[0:3], v[128:131], v[16:19], a[0:3], v159, v152 op_sel_hi:[0,0,0] cbsz:4 blgp:4// 000000003FF8: D3AC6000 1803319F D3AD8C00 84022180
	ds_read_b128 v[44:47], v168 offset:8960                    // 000000004008: D9FE2300 2C0000A8
	v_mfma_scale_f32_16x16x128_f8f6f4 a[4:7], v[128:131], v[20:23], a[4:7], v159, v152 op_sel_hi:[0,0,0] cbsz:4 blgp:4// 000000004010: D3AC7000 1803319F D3AD8C04 84122980
	s_add_u32 m0, 0x5280, s64                                  // 000000004020: 807C40FF 00005280
	buffer_load_dwordx4 v161, s[12:15], 0 offen lds            // 000000004028: E05D1000 800300A1
	v_mfma_scale_f32_16x16x128_f8f6f4 a[8:11], v[132:135], v[16:19], a[8:11], v159, v152 op_sel_hi:[0,0,0] cbsz:4 blgp:4// 000000004030: D3AC6800 1803319F D3AD8C08 84222184
	ds_read_b128 v[52:55], v168 offset:9024                    // 000000004040: D9FE2340 340000A8
	v_mfma_scale_f32_16x16x128_f8f6f4 a[12:15], v[132:135], v[20:23], a[12:15], v159, v152 op_sel_hi:[0,0,0] cbsz:4 blgp:4// 000000004048: D3AC7800 1803319F D3AD8C0C 84322984
	s_add_u32 m0, 0x6300, s64                                  // 000000004058: 807C40FF 00006300
	buffer_load_dwordx4 v162, s[12:15], 0 offen lds            // 000000004060: E05D1000 800300A2
	ds_read_b32 v154, v172 offset:4608                         // 000000004068: D86C1200 9A0000AC
	s_waitcnt lgkmcnt(5)                                       // 000000004070: BF8CC57F
	v_mfma_scale_f32_16x16x128_f8f6f4 a[16:19], v[120:123], v[24:27], a[16:19], v159, v153 op_sel_hi:[0,0,0] cbsz:4 blgp:4// 000000004074: D3AC6000 0003339F D3AD8C10 84423178
	ds_read_b128 v[56:59], v168 offset:12672                   // 000000004084: D9FE3180 380000A8
	v_mfma_scale_f32_16x16x128_f8f6f4 a[20:23], v[120:123], v[28:31], a[20:23], v159, v153 op_sel_hi:[0,0,0] cbsz:4 blgp:4// 00000000408C: D3AC7000 0003339F D3AD8C14 84523978
	s_add_u32 m0, 0x7380, s64                                  // 00000000409C: 807C40FF 00007380
	buffer_load_dwordx4 v163, s[12:15], 0 offen lds            // 0000000040A4: E05D1000 800300A3
	v_mfma_scale_f32_16x16x128_f8f6f4 a[24:27], v[124:127], v[24:27], a[24:27], v159, v153 op_sel_hi:[0,0,0] cbsz:4 blgp:4// 0000000040AC: D3AC6800 0003339F D3AD8C18 8462317C
	ds_read_b128 v[64:67], v168 offset:12736                   // 0000000040BC: D9FE31C0 400000A8
	v_mfma_scale_f32_16x16x128_f8f6f4 a[28:31], v[124:127], v[28:31], a[28:31], v159, v153 op_sel_hi:[0,0,0] cbsz:4 blgp:4// 0000000040C4: D3AC7800 0003339F D3AD8C1C 8472397C
	s_add_u32 m0, 0x8400, s64                                  // 0000000040D4: 807C40FF 00008400
	buffer_load_dwordx4 v164, s[12:15], 0 offen lds            // 0000000040DC: E05D1000 800300A4
	v_mfma_scale_f32_16x16x128_f8f6f4 a[16:19], v[128:131], v[32:35], a[16:19], v159, v153 op_sel_hi:[0,0,0] cbsz:4 blgp:4// 0000000040E4: D3AC0000 1803339F D3AD8C10 84424180
	ds_read_b128 v[60:63], v168 offset:13184                   // 0000000040F4: D9FE3380 3C0000A8
	v_mfma_scale_f32_16x16x128_f8f6f4 a[20:23], v[128:131], v[36:39], a[20:23], v159, v153 op_sel_hi:[0,0,0] cbsz:4 blgp:4// 0000000040FC: D3AC7000 1803339F D3AD8C14 84524980
	s_add_u32 m0, 0x9480, s64                                  // 00000000410C: 807C40FF 00009480
	buffer_load_dwordx4 v165, s[12:15], 0 offen lds            // 000000004114: E05D1000 800300A5
	v_mfma_scale_f32_16x16x128_f8f6f4 a[24:27], v[132:135], v[32:35], a[24:27], v159, v153 op_sel_hi:[0,0,0] cbsz:4 blgp:4// 00000000411C: D3AC6800 1803339F D3AD8C18 84624184
	s_add_u32 s62, 0x400, s60                                  // 00000000412C: 803E3CFF 00000400
	ds_read_b128 v[68:71], v168 offset:13248                   // 000000004134: D9FE33C0 440000A8
	v_mfma_scale_f32_16x16x128_f8f6f4 a[28:31], v[132:135], v[36:39], a[28:31], v159, v153 op_sel_hi:[0,0,0] cbsz:4 blgp:4// 00000000413C: D3AC7800 1803339F D3AD8C1C 84724984
	s_cmp_lt_u32 s62, s61                                      // 00000000414C: BF0A3D3E
	s_cselect_b32 s66, s66, 0                                  // 000000004150: 85428042
	ds_read_b32 v155, v172 offset:4864                         // 000000004154: D86C1300 9B0000AC
	s_waitcnt lgkmcnt(5)                                       // 00000000415C: BF8CC57F
	v_mfma_scale_f32_16x16x128_f8f6f4 a[32:35], v[120:123], v[40:43], a[32:35], v159, v154 op_sel_hi:[0,0,0] cbsz:4 blgp:4// 000000004160: D3AC6000 0003359F D3AD8C20 84825178
	s_cselect_b32 s68, s68, 0                                  // 000000004170: 85448044
	ds_read_b128 v[72:75], v168 offset:16896                   // 000000004174: D9FE4200 480000A8
	v_mfma_scale_f32_16x16x128_f8f6f4 a[36:39], v[120:123], v[44:47], a[36:39], v159, v154 op_sel_hi:[0,0,0] cbsz:4 blgp:4// 00000000417C: D3AC7000 0003359F D3AD8C24 84925978
	s_add_u32 s12, s12, s66                                    // 00000000418C: 800C420C
	buffer_load_dwordx4 v[104:107], v173, s[16:19], 0 offen    // 000000004190: E05C1000 800468AD
	v_mfma_scale_f32_16x16x128_f8f6f4 a[40:43], v[124:127], v[40:43], a[40:43], v159, v154 op_sel_hi:[0,0,0] cbsz:4 blgp:4// 000000004198: D3AC6800 0003359F D3AD8C28 84A2517C
	s_addc_u32 s13, 0, s13                                     // 0000000041A8: 820D0D80
	ds_read_b128 v[80:83], v168 offset:16960                   // 0000000041AC: D9FE4240 500000A8
	v_mfma_scale_f32_16x16x128_f8f6f4 a[44:47], v[124:127], v[44:47], a[44:47], v159, v154 op_sel_hi:[0,0,0] cbsz:4 blgp:4// 0000000041B4: D3AC7800 0003359F D3AD8C2C 84B2597C
	s_sub_u32 s14, s14, s66                                    // 0000000041C4: 808E420E
	s_add_u32 s20, s20, s68                                    // 0000000041C8: 80144414
	v_mfma_scale_f32_16x16x128_f8f6f4 a[32:35], v[128:131], v[48:51], a[32:35], v159, v154 op_sel_hi:[0,0,0] cbsz:4 blgp:4// 0000000041CC: D3AC6000 1803359F D3AD8C20 84826180
	s_addc_u32 s21, 0, s21                                     // 0000000041DC: 82151580
	ds_read_b128 v[76:79], v168 offset:17408                   // 0000000041E0: D9FE4400 4C0000A8
	v_mfma_scale_f32_16x16x128_f8f6f4 a[36:39], v[128:131], v[52:55], a[36:39], v159, v154 op_sel_hi:[0,0,0] cbsz:4 blgp:4// 0000000041E8: D3AC7000 1803359F D3AD8C24 84926980
	s_sub_u32 s22, s22, s68                                    // 0000000041F8: 80964416
	buffer_load_dwordx4 v[108:111], v174, s[16:19], 0 offen    // 0000000041FC: E05C1000 80046CAE
	v_mfma_scale_f32_16x16x128_f8f6f4 a[40:43], v[132:135], v[48:51], a[40:43], v159, v154 op_sel_hi:[0,0,0] cbsz:4 blgp:4// 000000004204: D3AC6800 1803359F D3AD8C28 84A26184
	s_add_u32 s63, 0x400, s60                                  // 000000004214: 803F3CFF 00000400
	ds_read_b128 v[84:87], v168 offset:17472                   // 00000000421C: D9FE4440 540000A8
	v_mfma_scale_f32_16x16x128_f8f6f4 a[44:47], v[132:135], v[52:55], a[44:47], v159, v154 op_sel_hi:[0,0,0] cbsz:4 blgp:4// 000000004224: D3AC7800 1803359F D3AD8C2C 84B26984
	s_cmp_lt_u32 s63, s61                                      // 000000004234: BF0A3D3F
	s_cselect_b32 s67, s67, 0                                  // 000000004238: 85438043
	ds_read_b32 v156, v172 offset:5120                         // 00000000423C: D86C1400 9C0000AC
	s_waitcnt vmcnt(29) lgkmcnt(5)                             // 000000004244: BF8C457D
	s_barrier                                                  // 000000004248: BF8A0000
	v_mfma_scale_f32_16x16x128_f8f6f4 a[48:51], v[120:123], v[56:59], a[48:51], v159, v155 op_sel_hi:[0,0,0] cbsz:4 blgp:4// 00000000424C: D3AC6000 0003379F D3AD8C30 84C27178
	s_cselect_b32 s69, s69, 0                                  // 00000000425C: 85458045
	ds_read_b128 v[8:11], v169                                 // 000000004260: D9FE0000 080000A9
	v_mfma_scale_f32_16x16x128_f8f6f4 a[52:55], v[120:123], v[60:63], a[52:55], v159, v155 op_sel_hi:[0,0,0] cbsz:4 blgp:4// 000000004268: D3AC7000 0003379F D3AD8C34 84D27978
	buffer_load_dwordx4 v[112:115], v173, s[16:19], 0 offen offset:1024// 000000004278: E05C1400 800470AD
	v_mfma_scale_f32_16x16x128_f8f6f4 a[56:59], v[124:127], v[56:59], a[56:59], v159, v155 op_sel_hi:[0,0,0] cbsz:4 blgp:4// 000000004280: D3AC6800 0003379F D3AD8C38 84E2717C
	ds_read_b128 v[16:19], v169 offset:64                      // 000000004290: D9FE0040 100000A9
	v_mfma_scale_f32_16x16x128_f8f6f4 a[60:63], v[124:127], v[60:63], a[60:63], v159, v155 op_sel_hi:[0,0,0] cbsz:4 blgp:4// 000000004298: D3AC7800 0003379F D3AD8C3C 84F2797C
	v_mfma_scale_f32_16x16x128_f8f6f4 a[48:51], v[128:131], v[64:67], a[48:51], v159, v155 op_sel_hi:[0,0,0] cbsz:4 blgp:4// 0000000042A8: D3AC6000 1803379F D3AD8C30 84C28180
	ds_read_b128 v[12:15], v169 offset:512                     // 0000000042B8: D9FE0200 0C0000A9
	v_mfma_scale_f32_16x16x128_f8f6f4 a[52:55], v[128:131], v[68:71], a[52:55], v159, v155 op_sel_hi:[0,0,0] cbsz:4 blgp:4// 0000000042C0: D3AC7000 1803379F D3AD8C34 84D28980
	buffer_load_dwordx4 v[116:119], v174, s[16:19], 0 offen offset:1024// 0000000042D0: E05C1400 800474AE
	v_mfma_scale_f32_16x16x128_f8f6f4 a[56:59], v[132:135], v[64:67], a[56:59], v159, v155 op_sel_hi:[0,0,0] cbsz:4 blgp:4// 0000000042D8: D3AC6800 1803379F D3AD8C38 84E28184
	ds_read_b128 v[20:23], v169 offset:576                     // 0000000042E8: D9FE0240 140000A9
	v_mfma_scale_f32_16x16x128_f8f6f4 a[60:63], v[132:135], v[68:71], a[60:63], v159, v155 op_sel_hi:[0,0,0] cbsz:4 blgp:4// 0000000042F0: D3AC7800 1803379F D3AD8C3C 84F28984
	ds_read_b32 v152, v172 offset:6144                         // 000000004300: D86C1800 980000AC
	s_waitcnt lgkmcnt(5)                                       // 000000004308: BF8CC57F
	v_mfma_scale_f32_16x16x128_f8f6f4 a[64:67], v[120:123], v[72:75], a[64:67], v159, v156 op_sel_hi:[0,0,0] cbsz:4 blgp:4// 00000000430C: D3AC6000 0003399F D3AD8C40 85029178
	ds_read_b128 v[24:27], v169 offset:4224                    // 00000000431C: D9FE1080 180000A9
	v_mfma_scale_f32_16x16x128_f8f6f4 a[68:71], v[120:123], v[76:79], a[68:71], v159, v156 op_sel_hi:[0,0,0] cbsz:4 blgp:4// 000000004324: D3AC7000 0003399F D3AD8C44 85129978
	buffer_load_dword v158, v175, s[24:27], 0 offen            // 000000004334: E0501000 80069EAF
	v_mfma_scale_f32_16x16x128_f8f6f4 a[72:75], v[124:127], v[72:75], a[72:75], v159, v156 op_sel_hi:[0,0,0] cbsz:4 blgp:4// 00000000433C: D3AC6800 0003399F D3AD8C48 8522917C
	s_add_u32 s16, s16, s67                                    // 00000000434C: 80104310
	ds_read_b128 v[32:35], v169 offset:4288                    // 000000004350: D9FE10C0 200000A9
	v_mfma_scale_f32_16x16x128_f8f6f4 a[76:79], v[124:127], v[76:79], a[76:79], v159, v156 op_sel_hi:[0,0,0] cbsz:4 blgp:4// 000000004358: D3AC7800 0003399F D3AD8C4C 8532997C
	s_addc_u32 s17, 0, s17                                     // 000000004368: 82111180
	s_sub_u32 s18, s18, s67                                    // 00000000436C: 80924312
	v_mfma_scale_f32_16x16x128_f8f6f4 a[64:67], v[128:131], v[80:83], a[64:67], v159, v156 op_sel_hi:[0,0,0] cbsz:4 blgp:4// 000000004370: D3AC6000 1803399F D3AD8C40 8502A180
	s_add_u32 s24, s24, s69                                    // 000000004380: 80184518
	ds_read_b128 v[28:31], v169 offset:4736                    // 000000004384: D9FE1280 1C0000A9
	v_mfma_scale_f32_16x16x128_f8f6f4 a[68:71], v[128:131], v[84:87], a[68:71], v159, v156 op_sel_hi:[0,0,0] cbsz:4 blgp:4// 00000000438C: D3AC7000 1803399F D3AD8C44 8512A980
	s_addc_u32 s25, 0, s25                                     // 00000000439C: 82191980
	s_sub_u32 s26, s26, s69                                    // 0000000043A0: 809A451A
	v_mfma_scale_f32_16x16x128_f8f6f4 a[72:75], v[132:135], v[80:83], a[72:75], v159, v156 op_sel_hi:[0,0,0] cbsz:4 blgp:4// 0000000043A4: D3AC6800 1803399F D3AD8C48 8522A184
	s_addk_i32 s60, 0x100                                      // 0000000043B4: B73C0100
	ds_read_b128 v[36:39], v169 offset:4800                    // 0000000043B8: D9FE12C0 240000A9
	v_mfma_scale_f32_16x16x128_f8f6f4 a[76:79], v[132:135], v[84:87], a[76:79], v159, v156 op_sel_hi:[0,0,0] cbsz:4 blgp:4// 0000000043C0: D3AC7800 1803399F D3AD8C4C 8532A984
	s_cmp_lt_i32 s60, s61                                      // 0000000043D0: BF043D3C
	ds_read_b32 v153, v172 offset:6400                         // 0000000043D4: D86C1900 990000AC
	s_cbranch_scc0 label_0B70                                  // 0000000043DC: BF840578
	s_waitcnt vmcnt(24) lgkmcnt(5)                             // 0000000043E0: BF8C4578
	s_barrier                                                  // 0000000043E4: BF8A0000
	v_mfma_scale_f32_16x16x128_f8f6f4 a[0:3], v[136:139], v[8:11], a[0:3], v160, v152 op_sel_hi:[0,0,0] cbsz:4 blgp:4// 0000000043E8: D3AC6000 000331A0 D3AD8C00 84021188
	ds_read_b128 v[40:43], v169 offset:8448                    // 0000000043F8: D9FE2100 280000A9
	v_mfma_scale_f32_16x16x128_f8f6f4 a[4:7], v[136:139], v[12:15], a[4:7], v160, v152 op_sel_hi:[0,0,0] cbsz:4 blgp:4// 000000004400: D3AC7000 000331A0 D3AD8C04 84121988
	s_add_u32 m0, 0x1000, s65                                  // 000000004410: 807C41FF 00001000
	buffer_load_dword v170, s[20:23], 0 offen lds              // 000000004418: E0511000 800500AA
	v_mfma_scale_f32_16x16x128_f8f6f4 a[8:11], v[140:143], v[8:11], a[8:11], v160, v152 op_sel_hi:[0,0,0] cbsz:4 blgp:4// 000000004420: D3AC6800 000331A0 D3AD8C08 8422118C
	ds_read_b128 v[48:51], v169 offset:8512                    // 000000004430: D9FE2140 300000A9
	v_mfma_scale_f32_16x16x128_f8f6f4 a[12:15], v[140:143], v[12:15], a[12:15], v160, v152 op_sel_hi:[0,0,0] cbsz:4 blgp:4// 000000004438: D3AC7800 000331A0 D3AD8C0C 8432198C
	s_add_u32 m0, 0x1400, s65                                  // 000000004448: 807C41FF 00001400
	buffer_load_dword v171, s[20:23], 0 offen lds              // 000000004450: E0511000 800500AB
	v_mfma_scale_f32_16x16x128_f8f6f4 a[0:3], v[144:147], v[16:19], a[0:3], v160, v152 op_sel_hi:[0,0,0] cbsz:4 blgp:4// 000000004458: D3AC6000 180331A0 D3AD8C00 84022190
	ds_read_b128 v[44:47], v169 offset:8960                    // 000000004468: D9FE2300 2C0000A9
	v_mfma_scale_f32_16x16x128_f8f6f4 a[4:7], v[144:147], v[20:23], a[4:7], v160, v152 op_sel_hi:[0,0,0] cbsz:4 blgp:4// 000000004470: D3AC7000 180331A0 D3AD8C04 84122990
	s_add_u32 m0, 0xa500, s64                                  // 000000004480: 807C40FF 0000A500
	buffer_load_dwordx4 v161, s[12:15], 0 offen lds            // 000000004488: E05D1000 800300A1
	v_mfma_scale_f32_16x16x128_f8f6f4 a[8:11], v[148:151], v[16:19], a[8:11], v160, v152 op_sel_hi:[0,0,0] cbsz:4 blgp:4// 000000004490: D3AC6800 180331A0 D3AD8C08 84222194
	ds_read_b128 v[52:55], v169 offset:9024                    // 0000000044A0: D9FE2340 340000A9
	v_mfma_scale_f32_16x16x128_f8f6f4 a[12:15], v[148:151], v[20:23], a[12:15], v160, v152 op_sel_hi:[0,0,0] cbsz:4 blgp:4// 0000000044A8: D3AC7800 180331A0 D3AD8C0C 84322994
	s_add_u32 m0, 0xb580, s64                                  // 0000000044B8: 807C40FF 0000B580
	buffer_load_dwordx4 v162, s[12:15], 0 offen lds            // 0000000044C0: E05D1000 800300A2
	ds_read_b32 v154, v172 offset:6656                         // 0000000044C8: D86C1A00 9A0000AC
	s_waitcnt lgkmcnt(5)                                       // 0000000044D0: BF8CC57F
	v_mfma_scale_f32_16x16x128_f8f6f4 a[16:19], v[136:139], v[24:27], a[16:19], v160, v153 op_sel_hi:[0,0,0] cbsz:4 blgp:4// 0000000044D4: D3AC6000 000333A0 D3AD8C10 84423188
	ds_read_b128 v[56:59], v169 offset:12672                   // 0000000044E4: D9FE3180 380000A9
	v_mfma_scale_f32_16x16x128_f8f6f4 a[20:23], v[136:139], v[28:31], a[20:23], v160, v153 op_sel_hi:[0,0,0] cbsz:4 blgp:4// 0000000044EC: D3AC7000 000333A0 D3AD8C14 84523988
	s_add_u32 m0, 0xc600, s64                                  // 0000000044FC: 807C40FF 0000C600
	buffer_load_dwordx4 v163, s[12:15], 0 offen lds            // 000000004504: E05D1000 800300A3
	v_mfma_scale_f32_16x16x128_f8f6f4 a[24:27], v[140:143], v[24:27], a[24:27], v160, v153 op_sel_hi:[0,0,0] cbsz:4 blgp:4// 00000000450C: D3AC6800 000333A0 D3AD8C18 8462318C
	ds_read_b128 v[64:67], v169 offset:12736                   // 00000000451C: D9FE31C0 400000A9
	v_mfma_scale_f32_16x16x128_f8f6f4 a[28:31], v[140:143], v[28:31], a[28:31], v160, v153 op_sel_hi:[0,0,0] cbsz:4 blgp:4// 000000004524: D3AC7800 000333A0 D3AD8C1C 8472398C
	s_add_u32 m0, 0xd680, s64                                  // 000000004534: 807C40FF 0000D680
	buffer_load_dwordx4 v164, s[12:15], 0 offen lds            // 00000000453C: E05D1000 800300A4
	v_mfma_scale_f32_16x16x128_f8f6f4 a[16:19], v[144:147], v[32:35], a[16:19], v160, v153 op_sel_hi:[0,0,0] cbsz:4 blgp:4// 000000004544: D3AC6000 180333A0 D3AD8C10 84424190
	ds_read_b128 v[60:63], v169 offset:13184                   // 000000004554: D9FE3380 3C0000A9
	v_mfma_scale_f32_16x16x128_f8f6f4 a[20:23], v[144:147], v[36:39], a[20:23], v160, v153 op_sel_hi:[0,0,0] cbsz:4 blgp:4// 00000000455C: D3AC7000 180333A0 D3AD8C14 84524990
	s_add_u32 m0, 0xe700, s64                                  // 00000000456C: 807C40FF 0000E700
	buffer_load_dwordx4 v165, s[12:15], 0 offen lds            // 000000004574: E05D1000 800300A5
	v_mfma_scale_f32_16x16x128_f8f6f4 a[24:27], v[148:151], v[32:35], a[24:27], v160, v153 op_sel_hi:[0,0,0] cbsz:4 blgp:4// 00000000457C: D3AC6800 180333A0 D3AD8C18 84624194
	s_add_u32 s62, 0x400, s60                                  // 00000000458C: 803E3CFF 00000400
	ds_read_b128 v[68:71], v169 offset:13248                   // 000000004594: D9FE33C0 440000A9
	v_mfma_scale_f32_16x16x128_f8f6f4 a[28:31], v[148:151], v[36:39], a[28:31], v160, v153 op_sel_hi:[0,0,0] cbsz:4 blgp:4// 00000000459C: D3AC7800 180333A0 D3AD8C1C 84724994
	s_cmp_lt_u32 s62, s61                                      // 0000000045AC: BF0A3D3E
	s_cselect_b32 s66, s66, 0                                  // 0000000045B0: 85428042
	ds_read_b32 v155, v172 offset:6912                         // 0000000045B4: D86C1B00 9B0000AC
	s_waitcnt lgkmcnt(5)                                       // 0000000045BC: BF8CC57F
	v_mfma_scale_f32_16x16x128_f8f6f4 a[32:35], v[136:139], v[40:43], a[32:35], v160, v154 op_sel_hi:[0,0,0] cbsz:4 blgp:4// 0000000045C0: D3AC6000 000335A0 D3AD8C20 84825188
	s_cselect_b32 s68, s68, 0                                  // 0000000045D0: 85448044
	ds_read_b128 v[72:75], v169 offset:16896                   // 0000000045D4: D9FE4200 480000A9
	v_mfma_scale_f32_16x16x128_f8f6f4 a[36:39], v[136:139], v[44:47], a[36:39], v160, v154 op_sel_hi:[0,0,0] cbsz:4 blgp:4// 0000000045DC: D3AC7000 000335A0 D3AD8C24 84925988
	s_add_u32 s12, s12, s66                                    // 0000000045EC: 800C420C
	buffer_load_dwordx4 v[120:123], v173, s[16:19], 0 offen    // 0000000045F0: E05C1000 800478AD
	v_mfma_scale_f32_16x16x128_f8f6f4 a[40:43], v[140:143], v[40:43], a[40:43], v160, v154 op_sel_hi:[0,0,0] cbsz:4 blgp:4// 0000000045F8: D3AC6800 000335A0 D3AD8C28 84A2518C
	s_addc_u32 s13, 0, s13                                     // 000000004608: 820D0D80
	ds_read_b128 v[80:83], v169 offset:16960                   // 00000000460C: D9FE4240 500000A9
	v_mfma_scale_f32_16x16x128_f8f6f4 a[44:47], v[140:143], v[44:47], a[44:47], v160, v154 op_sel_hi:[0,0,0] cbsz:4 blgp:4// 000000004614: D3AC7800 000335A0 D3AD8C2C 84B2598C
	s_sub_u32 s14, s14, s66                                    // 000000004624: 808E420E
	s_add_u32 s20, s20, s68                                    // 000000004628: 80144414
	v_mfma_scale_f32_16x16x128_f8f6f4 a[32:35], v[144:147], v[48:51], a[32:35], v160, v154 op_sel_hi:[0,0,0] cbsz:4 blgp:4// 00000000462C: D3AC6000 180335A0 D3AD8C20 84826190
	s_addc_u32 s21, 0, s21                                     // 00000000463C: 82151580
	ds_read_b128 v[76:79], v169 offset:17408                   // 000000004640: D9FE4400 4C0000A9
	v_mfma_scale_f32_16x16x128_f8f6f4 a[36:39], v[144:147], v[52:55], a[36:39], v160, v154 op_sel_hi:[0,0,0] cbsz:4 blgp:4// 000000004648: D3AC7000 180335A0 D3AD8C24 84926990
	s_sub_u32 s22, s22, s68                                    // 000000004658: 80964416
	buffer_load_dwordx4 v[124:127], v174, s[16:19], 0 offen    // 00000000465C: E05C1000 80047CAE
	v_mfma_scale_f32_16x16x128_f8f6f4 a[40:43], v[148:151], v[48:51], a[40:43], v160, v154 op_sel_hi:[0,0,0] cbsz:4 blgp:4// 000000004664: D3AC6800 180335A0 D3AD8C28 84A26194
	s_add_u32 s63, 0x400, s60                                  // 000000004674: 803F3CFF 00000400
	ds_read_b128 v[84:87], v169 offset:17472                   // 00000000467C: D9FE4440 540000A9
	v_mfma_scale_f32_16x16x128_f8f6f4 a[44:47], v[148:151], v[52:55], a[44:47], v160, v154 op_sel_hi:[0,0,0] cbsz:4 blgp:4// 000000004684: D3AC7800 180335A0 D3AD8C2C 84B26994
	s_cmp_lt_u32 s63, s61                                      // 000000004694: BF0A3D3F
	s_cselect_b32 s67, s67, 0                                  // 000000004698: 85438043
	ds_read_b32 v156, v172 offset:7168                         // 00000000469C: D86C1C00 9C0000AC
	s_waitcnt vmcnt(29) lgkmcnt(5)                             // 0000000046A4: BF8C457D
	s_barrier                                                  // 0000000046A8: BF8A0000
	v_mfma_scale_f32_16x16x128_f8f6f4 a[48:51], v[136:139], v[56:59], a[48:51], v160, v155 op_sel_hi:[0,0,0] cbsz:4 blgp:4// 0000000046AC: D3AC6000 000337A0 D3AD8C30 84C27188
	s_cselect_b32 s69, s69, 0                                  // 0000000046BC: 85458045
	ds_read_b128 v[8:11], v166                                 // 0000000046C0: D9FE0000 080000A6
	v_mfma_scale_f32_16x16x128_f8f6f4 a[52:55], v[136:139], v[60:63], a[52:55], v160, v155 op_sel_hi:[0,0,0] cbsz:4 blgp:4// 0000000046C8: D3AC7000 000337A0 D3AD8C34 84D27988
	buffer_load_dwordx4 v[128:131], v173, s[16:19], 0 offen offset:1024// 0000000046D8: E05C1400 800480AD
	v_mfma_scale_f32_16x16x128_f8f6f4 a[56:59], v[140:143], v[56:59], a[56:59], v160, v155 op_sel_hi:[0,0,0] cbsz:4 blgp:4// 0000000046E0: D3AC6800 000337A0 D3AD8C38 84E2718C
	ds_read_b128 v[16:19], v166 offset:64                      // 0000000046F0: D9FE0040 100000A6
	v_mfma_scale_f32_16x16x128_f8f6f4 a[60:63], v[140:143], v[60:63], a[60:63], v160, v155 op_sel_hi:[0,0,0] cbsz:4 blgp:4// 0000000046F8: D3AC7800 000337A0 D3AD8C3C 84F2798C
	v_mfma_scale_f32_16x16x128_f8f6f4 a[48:51], v[144:147], v[64:67], a[48:51], v160, v155 op_sel_hi:[0,0,0] cbsz:4 blgp:4// 000000004708: D3AC6000 180337A0 D3AD8C30 84C28190
	ds_read_b128 v[12:15], v166 offset:512                     // 000000004718: D9FE0200 0C0000A6
	v_mfma_scale_f32_16x16x128_f8f6f4 a[52:55], v[144:147], v[68:71], a[52:55], v160, v155 op_sel_hi:[0,0,0] cbsz:4 blgp:4// 000000004720: D3AC7000 180337A0 D3AD8C34 84D28990
	buffer_load_dwordx4 v[132:135], v174, s[16:19], 0 offen offset:1024// 000000004730: E05C1400 800484AE
	v_mfma_scale_f32_16x16x128_f8f6f4 a[56:59], v[148:151], v[64:67], a[56:59], v160, v155 op_sel_hi:[0,0,0] cbsz:4 blgp:4// 000000004738: D3AC6800 180337A0 D3AD8C38 84E28194
	ds_read_b128 v[20:23], v166 offset:576                     // 000000004748: D9FE0240 140000A6
	v_mfma_scale_f32_16x16x128_f8f6f4 a[60:63], v[148:151], v[68:71], a[60:63], v160, v155 op_sel_hi:[0,0,0] cbsz:4 blgp:4// 000000004750: D3AC7800 180337A0 D3AD8C3C 84F28994
	ds_read_b32 v152, v172                                     // 000000004760: D86C0000 980000AC
	s_waitcnt lgkmcnt(5)                                       // 000000004768: BF8CC57F
	v_mfma_scale_f32_16x16x128_f8f6f4 a[64:67], v[136:139], v[72:75], a[64:67], v160, v156 op_sel_hi:[0,0,0] cbsz:4 blgp:4// 00000000476C: D3AC6000 000339A0 D3AD8C40 85029188
	ds_read_b128 v[24:27], v166 offset:4224                    // 00000000477C: D9FE1080 180000A6
	v_mfma_scale_f32_16x16x128_f8f6f4 a[68:71], v[136:139], v[76:79], a[68:71], v160, v156 op_sel_hi:[0,0,0] cbsz:4 blgp:4// 000000004784: D3AC7000 000339A0 D3AD8C44 85129988
	buffer_load_dword v159, v175, s[24:27], 0 offen            // 000000004794: E0501000 80069FAF
	v_mfma_scale_f32_16x16x128_f8f6f4 a[72:75], v[140:143], v[72:75], a[72:75], v160, v156 op_sel_hi:[0,0,0] cbsz:4 blgp:4// 00000000479C: D3AC6800 000339A0 D3AD8C48 8522918C
	s_add_u32 s16, s16, s67                                    // 0000000047AC: 80104310
	ds_read_b128 v[32:35], v166 offset:4288                    // 0000000047B0: D9FE10C0 200000A6
	v_mfma_scale_f32_16x16x128_f8f6f4 a[76:79], v[140:143], v[76:79], a[76:79], v160, v156 op_sel_hi:[0,0,0] cbsz:4 blgp:4// 0000000047B8: D3AC7800 000339A0 D3AD8C4C 8532998C
	s_addc_u32 s17, 0, s17                                     // 0000000047C8: 82111180
	s_sub_u32 s18, s18, s67                                    // 0000000047CC: 80924312
	v_mfma_scale_f32_16x16x128_f8f6f4 a[64:67], v[144:147], v[80:83], a[64:67], v160, v156 op_sel_hi:[0,0,0] cbsz:4 blgp:4// 0000000047D0: D3AC6000 180339A0 D3AD8C40 8502A190
	s_add_u32 s24, s24, s69                                    // 0000000047E0: 80184518
	ds_read_b128 v[28:31], v166 offset:4736                    // 0000000047E4: D9FE1280 1C0000A6
	v_mfma_scale_f32_16x16x128_f8f6f4 a[68:71], v[144:147], v[84:87], a[68:71], v160, v156 op_sel_hi:[0,0,0] cbsz:4 blgp:4// 0000000047EC: D3AC7000 180339A0 D3AD8C44 8512A990
	s_addc_u32 s25, 0, s25                                     // 0000000047FC: 82191980
	s_sub_u32 s26, s26, s69                                    // 000000004800: 809A451A
	v_mfma_scale_f32_16x16x128_f8f6f4 a[72:75], v[148:151], v[80:83], a[72:75], v160, v156 op_sel_hi:[0,0,0] cbsz:4 blgp:4// 000000004804: D3AC6800 180339A0 D3AD8C48 8522A194
	s_addk_i32 s60, 0x100                                      // 000000004814: B73C0100
	ds_read_b128 v[36:39], v166 offset:4800                    // 000000004818: D9FE12C0 240000A6
	v_mfma_scale_f32_16x16x128_f8f6f4 a[76:79], v[148:151], v[84:87], a[76:79], v160, v156 op_sel_hi:[0,0,0] cbsz:4 blgp:4// 000000004820: D3AC7800 180339A0 D3AD8C4C 8532A994
	s_cmp_lt_i32 s60, s61                                      // 000000004830: BF043D3C
	ds_read_b32 v153, v172 offset:256                          // 000000004834: D86C0100 990000AC
	s_cbranch_scc0 label_0B70                                  // 00000000483C: BF840460
	s_branch label_02B2                                        // 000000004840: BF82FBA1

0000000000004844 <label_0711>:
	s_waitcnt vmcnt(24) lgkmcnt(5)                             // 000000004844: BF8C4578
	s_barrier                                                  // 000000004848: BF8A0000
	v_mfma_scale_f32_16x16x128_f8f6f4 a[0:3], v[88:91], v[8:11], a[0:3], v157, v152 op_sel_hi:[0,0,0] cbsz:4 blgp:4// 00000000484C: D3AC6000 0003319D D3AD8C00 84021158
	s_add_u32 m0, 0x1800, s65                                  // 00000000485C: 807C41FF 00001800
	buffer_load_dword v170, s[20:23], 0 offen lds              // 000000004864: E0511000 800500AA
	v_mfma_scale_f32_16x16x128_f8f6f4 a[4:7], v[88:91], v[12:15], a[4:7], v157, v152 op_sel_hi:[0,0,0] cbsz:4 blgp:4// 00000000486C: D3AC7000 0003319D D3AD8C04 84121958
	ds_read_b128 v[40:43], v166 offset:8448                    // 00000000487C: D9FE2100 280000A6
	v_mfma_scale_f32_16x16x128_f8f6f4 a[8:11], v[92:95], v[8:11], a[8:11], v157, v152 op_sel_hi:[0,0,0] cbsz:4 blgp:4// 000000004884: D3AC6800 0003319D D3AD8C08 8422115C
	s_add_u32 m0, 0x1c00, s65                                  // 000000004894: 807C41FF 00001C00
	buffer_load_dword v171, s[20:23], 0 offen lds              // 00000000489C: E0511000 800500AB
	v_mfma_scale_f32_16x16x128_f8f6f4 a[12:15], v[92:95], v[12:15], a[12:15], v157, v152 op_sel_hi:[0,0,0] cbsz:4 blgp:4// 0000000048A4: D3AC7800 0003319D D3AD8C0C 8432195C
	ds_read_b128 v[48:51], v166 offset:8512                    // 0000000048B4: D9FE2140 300000A6
	v_mfma_scale_f32_16x16x128_f8f6f4 a[0:3], v[96:99], v[16:19], a[0:3], v157, v152 op_sel_hi:[0,0,0] cbsz:4 blgp:4// 0000000048BC: D3AC6000 1803319D D3AD8C00 84022160
	s_add_u32 m0, 0xf780, s64                                  // 0000000048CC: 807C40FF 0000F780
	buffer_load_dwordx4 v161, s[12:15], 0 offen lds            // 0000000048D4: E05D1000 800300A1
	v_mfma_scale_f32_16x16x128_f8f6f4 a[4:7], v[96:99], v[20:23], a[4:7], v157, v152 op_sel_hi:[0,0,0] cbsz:4 blgp:4// 0000000048DC: D3AC7000 1803319D D3AD8C04 84122960
	ds_read_b128 v[44:47], v166 offset:8960                    // 0000000048EC: D9FE2300 2C0000A6
	v_mfma_scale_f32_16x16x128_f8f6f4 a[8:11], v[100:103], v[16:19], a[8:11], v157, v152 op_sel_hi:[0,0,0] cbsz:4 blgp:4// 0000000048F4: D3AC6800 1803319D D3AD8C08 84222164
	s_add_u32 m0, 0x10800, s64                                 // 000000004904: 807C40FF 00010800
	buffer_load_dwordx4 v162, s[12:15], 0 offen lds            // 00000000490C: E05D1000 800300A2
	v_mfma_scale_f32_16x16x128_f8f6f4 a[12:15], v[100:103], v[20:23], a[12:15], v157, v152 op_sel_hi:[0,0,0] cbsz:4 blgp:4// 000000004914: D3AC7800 1803319D D3AD8C0C 84322964
	ds_read_b128 v[52:55], v166 offset:9024                    // 000000004924: D9FE2340 340000A6
	ds_read_b32 v154, v172 offset:512                          // 00000000492C: D86C0200 9A0000AC
	s_waitcnt lgkmcnt(5)                                       // 000000004934: BF8CC57F
	v_mfma_scale_f32_16x16x128_f8f6f4 a[16:19], v[88:91], v[24:27], a[16:19], v157, v153 op_sel_hi:[0,0,0] cbsz:4 blgp:4// 000000004938: D3AC6000 0003339D D3AD8C10 84423158
	s_add_u32 m0, 0x11880, s64                                 // 000000004948: 807C40FF 00011880
	buffer_load_dwordx4 v163, s[12:15], 0 offen lds            // 000000004950: E05D1000 800300A3
	v_mfma_scale_f32_16x16x128_f8f6f4 a[20:23], v[88:91], v[28:31], a[20:23], v157, v153 op_sel_hi:[0,0,0] cbsz:4 blgp:4// 000000004958: D3AC7000 0003339D D3AD8C14 84523958
	ds_read_b128 v[56:59], v166 offset:12672                   // 000000004968: D9FE3180 380000A6
	v_mfma_scale_f32_16x16x128_f8f6f4 a[24:27], v[92:95], v[24:27], a[24:27], v157, v153 op_sel_hi:[0,0,0] cbsz:4 blgp:4// 000000004970: D3AC6800 0003339D D3AD8C18 8462315C
	s_add_u32 m0, 0x12900, s64                                 // 000000004980: 807C40FF 00012900
	buffer_load_dwordx4 v164, s[12:15], 0 offen lds            // 000000004988: E05D1000 800300A4
	v_mfma_scale_f32_16x16x128_f8f6f4 a[28:31], v[92:95], v[28:31], a[28:31], v157, v153 op_sel_hi:[0,0,0] cbsz:4 blgp:4// 000000004990: D3AC7800 0003339D D3AD8C1C 8472395C
	ds_read_b128 v[64:67], v166 offset:12736                   // 0000000049A0: D9FE31C0 400000A6
	v_mfma_scale_f32_16x16x128_f8f6f4 a[16:19], v[96:99], v[32:35], a[16:19], v157, v153 op_sel_hi:[0,0,0] cbsz:4 blgp:4// 0000000049A8: D3AC6000 1803339D D3AD8C10 84424160
	s_add_u32 m0, 0x13980, s64                                 // 0000000049B8: 807C40FF 00013980
	buffer_load_dwordx4 v165, s[12:15], 0 offen lds            // 0000000049C0: E05D1000 800300A5
	v_mfma_scale_f32_16x16x128_f8f6f4 a[20:23], v[96:99], v[36:39], a[20:23], v157, v153 op_sel_hi:[0,0,0] cbsz:4 blgp:4// 0000000049C8: D3AC7000 1803339D D3AD8C14 84524960
	s_add_u32 s62, 0x400, s60                                  // 0000000049D8: 803E3CFF 00000400
	ds_read_b128 v[60:63], v166 offset:13184                   // 0000000049E0: D9FE3380 3C0000A6
	v_mfma_scale_f32_16x16x128_f8f6f4 a[24:27], v[100:103], v[32:35], a[24:27], v157, v153 op_sel_hi:[0,0,0] cbsz:4 blgp:4// 0000000049E8: D3AC6800 1803339D D3AD8C18 84624164
	s_cmp_lt_u32 s62, s61                                      // 0000000049F8: BF0A3D3E
	s_cselect_b32 s66, s66, 0                                  // 0000000049FC: 85428042
	v_mfma_scale_f32_16x16x128_f8f6f4 a[28:31], v[100:103], v[36:39], a[28:31], v157, v153 op_sel_hi:[0,0,0] cbsz:4 blgp:4// 000000004A00: D3AC7800 1803339D D3AD8C1C 84724964
	s_cselect_b32 s68, s68, 0                                  // 000000004A10: 85448044
	ds_read_b128 v[68:71], v166 offset:13248                   // 000000004A14: D9FE33C0 440000A6
	ds_read_b32 v155, v172 offset:768                          // 000000004A1C: D86C0300 9B0000AC
	s_waitcnt lgkmcnt(5)                                       // 000000004A24: BF8CC57F
	v_mfma_scale_f32_16x16x128_f8f6f4 a[32:35], v[88:91], v[40:43], a[32:35], v157, v154 op_sel_hi:[0,0,0] cbsz:4 blgp:4// 000000004A28: D3AC6000 0003359D D3AD8C20 84825158
	s_add_u32 s12, s12, s66                                    // 000000004A38: 800C420C
	buffer_load_dwordx4 v[136:139], v173, s[16:19], 0 offen    // 000000004A3C: E05C1000 800488AD
	v_mfma_scale_f32_16x16x128_f8f6f4 a[36:39], v[88:91], v[44:47], a[36:39], v157, v154 op_sel_hi:[0,0,0] cbsz:4 blgp:4// 000000004A44: D3AC7000 0003359D D3AD8C24 84925958
	s_addc_u32 s13, 0, s13                                     // 000000004A54: 820D0D80
	ds_read_b128 v[72:75], v166 offset:16896                   // 000000004A58: D9FE4200 480000A6
	v_mfma_scale_f32_16x16x128_f8f6f4 a[40:43], v[92:95], v[40:43], a[40:43], v157, v154 op_sel_hi:[0,0,0] cbsz:4 blgp:4// 000000004A60: D3AC6800 0003359D D3AD8C28 84A2515C
	s_sub_u32 s14, s14, s66                                    // 000000004A70: 808E420E
	s_add_u32 s20, s20, s68                                    // 000000004A74: 80144414
	v_mfma_scale_f32_16x16x128_f8f6f4 a[44:47], v[92:95], v[44:47], a[44:47], v157, v154 op_sel_hi:[0,0,0] cbsz:4 blgp:4// 000000004A78: D3AC7800 0003359D D3AD8C2C 84B2595C
	s_addc_u32 s21, 0, s21                                     // 000000004A88: 82151580
	ds_read_b128 v[80:83], v166 offset:16960                   // 000000004A8C: D9FE4240 500000A6
	v_mfma_scale_f32_16x16x128_f8f6f4 a[32:35], v[96:99], v[48:51], a[32:35], v157, v154 op_sel_hi:[0,0,0] cbsz:4 blgp:4// 000000004A94: D3AC6000 1803359D D3AD8C20 84826160
	s_sub_u32 s22, s22, s68                                    // 000000004AA4: 80964416
	buffer_load_dwordx4 v[140:143], v174, s[16:19], 0 offen    // 000000004AA8: E05C1000 80048CAE
	v_mfma_scale_f32_16x16x128_f8f6f4 a[36:39], v[96:99], v[52:55], a[36:39], v157, v154 op_sel_hi:[0,0,0] cbsz:4 blgp:4// 000000004AB0: D3AC7000 1803359D D3AD8C24 84926960
	s_add_u32 s63, 0x400, s60                                  // 000000004AC0: 803F3CFF 00000400
	ds_read_b128 v[76:79], v166 offset:17408                   // 000000004AC8: D9FE4400 4C0000A6
	v_mfma_scale_f32_16x16x128_f8f6f4 a[40:43], v[100:103], v[48:51], a[40:43], v157, v154 op_sel_hi:[0,0,0] cbsz:4 blgp:4// 000000004AD0: D3AC6800 1803359D D3AD8C28 84A26164
	s_cmp_lt_u32 s63, s61                                      // 000000004AE0: BF0A3D3F
	s_cselect_b32 s67, s67, 0                                  // 000000004AE4: 85438043
	v_mfma_scale_f32_16x16x128_f8f6f4 a[44:47], v[100:103], v[52:55], a[44:47], v157, v154 op_sel_hi:[0,0,0] cbsz:4 blgp:4// 000000004AE8: D3AC7800 1803359D D3AD8C2C 84B26964
	s_cselect_b32 s69, s69, 0                                  // 000000004AF8: 85458045
	ds_read_b128 v[84:87], v166 offset:17472                   // 000000004AFC: D9FE4440 540000A6
	ds_read_b32 v156, v172 offset:1024                         // 000000004B04: D86C0400 9C0000AC
	s_waitcnt vmcnt(29) lgkmcnt(5)                             // 000000004B0C: BF8C457D
	s_barrier                                                  // 000000004B10: BF8A0000
	v_mfma_scale_f32_16x16x128_f8f6f4 a[48:51], v[88:91], v[56:59], a[48:51], v157, v155 op_sel_hi:[0,0,0] cbsz:4 blgp:4// 000000004B14: D3AC6000 0003379D D3AD8C30 84C27158
	buffer_load_dwordx4 v[144:147], v173, s[16:19], 0 offen offset:1024// 000000004B24: E05C1400 800490AD
	v_mfma_scale_f32_16x16x128_f8f6f4 a[52:55], v[88:91], v[60:63], a[52:55], v157, v155 op_sel_hi:[0,0,0] cbsz:4 blgp:4// 000000004B2C: D3AC7000 0003379D D3AD8C34 84D27958
	ds_read_b128 v[8:11], v167                                 // 000000004B3C: D9FE0000 080000A7
	v_mfma_scale_f32_16x16x128_f8f6f4 a[56:59], v[92:95], v[56:59], a[56:59], v157, v155 op_sel_hi:[0,0,0] cbsz:4 blgp:4// 000000004B44: D3AC6800 0003379D D3AD8C38 84E2715C
	v_mfma_scale_f32_16x16x128_f8f6f4 a[60:63], v[92:95], v[60:63], a[60:63], v157, v155 op_sel_hi:[0,0,0] cbsz:4 blgp:4// 000000004B54: D3AC7800 0003379D D3AD8C3C 84F2795C
	ds_read_b128 v[16:19], v167 offset:64                      // 000000004B64: D9FE0040 100000A7
	v_mfma_scale_f32_16x16x128_f8f6f4 a[48:51], v[96:99], v[64:67], a[48:51], v157, v155 op_sel_hi:[0,0,0] cbsz:4 blgp:4// 000000004B6C: D3AC6000 1803379D D3AD8C30 84C28160
	buffer_load_dwordx4 v[148:151], v174, s[16:19], 0 offen offset:1024// 000000004B7C: E05C1400 800494AE
	v_mfma_scale_f32_16x16x128_f8f6f4 a[52:55], v[96:99], v[68:71], a[52:55], v157, v155 op_sel_hi:[0,0,0] cbsz:4 blgp:4// 000000004B84: D3AC7000 1803379D D3AD8C34 84D28960
	ds_read_b128 v[12:15], v167 offset:512                     // 000000004B94: D9FE0200 0C0000A7
	v_mfma_scale_f32_16x16x128_f8f6f4 a[56:59], v[100:103], v[64:67], a[56:59], v157, v155 op_sel_hi:[0,0,0] cbsz:4 blgp:4// 000000004B9C: D3AC6800 1803379D D3AD8C38 84E28164
	v_mfma_scale_f32_16x16x128_f8f6f4 a[60:63], v[100:103], v[68:71], a[60:63], v157, v155 op_sel_hi:[0,0,0] cbsz:4 blgp:4// 000000004BAC: D3AC7800 1803379D D3AD8C3C 84F28964
	ds_read_b128 v[20:23], v167 offset:576                     // 000000004BBC: D9FE0240 140000A7
	ds_read_b32 v152, v172 offset:2048                         // 000000004BC4: D86C0800 980000AC
	s_waitcnt lgkmcnt(5)                                       // 000000004BCC: BF8CC57F
	v_mfma_scale_f32_16x16x128_f8f6f4 a[64:67], v[88:91], v[72:75], a[64:67], v157, v156 op_sel_hi:[0,0,0] cbsz:4 blgp:4// 000000004BD0: D3AC6000 0003399D D3AD8C40 85029158
	buffer_load_dword v160, v175, s[24:27], 0 offen            // 000000004BE0: E0501000 8006A0AF
	v_mfma_scale_f32_16x16x128_f8f6f4 a[68:71], v[88:91], v[76:79], a[68:71], v157, v156 op_sel_hi:[0,0,0] cbsz:4 blgp:4// 000000004BE8: D3AC7000 0003399D D3AD8C44 85129958
	s_add_u32 s16, s16, s67                                    // 000000004BF8: 80104310
	ds_read_b128 v[24:27], v167 offset:4224                    // 000000004BFC: D9FE1080 180000A7
	v_mfma_scale_f32_16x16x128_f8f6f4 a[72:75], v[92:95], v[72:75], a[72:75], v157, v156 op_sel_hi:[0,0,0] cbsz:4 blgp:4// 000000004C04: D3AC6800 0003399D D3AD8C48 8522915C
	s_addc_u32 s17, 0, s17                                     // 000000004C14: 82111180
	s_sub_u32 s18, s18, s67                                    // 000000004C18: 80924312
	v_mfma_scale_f32_16x16x128_f8f6f4 a[76:79], v[92:95], v[76:79], a[76:79], v157, v156 op_sel_hi:[0,0,0] cbsz:4 blgp:4// 000000004C1C: D3AC7800 0003399D D3AD8C4C 8532995C
	s_add_u32 s24, s24, s69                                    // 000000004C2C: 80184518
	ds_read_b128 v[32:35], v167 offset:4288                    // 000000004C30: D9FE10C0 200000A7
	v_mfma_scale_f32_16x16x128_f8f6f4 a[64:67], v[96:99], v[80:83], a[64:67], v157, v156 op_sel_hi:[0,0,0] cbsz:4 blgp:4// 000000004C38: D3AC6000 1803399D D3AD8C40 8502A160
	s_addc_u32 s25, 0, s25                                     // 000000004C48: 82191980
	s_sub_u32 s26, s26, s69                                    // 000000004C4C: 809A451A
	v_mfma_scale_f32_16x16x128_f8f6f4 a[68:71], v[96:99], v[84:87], a[68:71], v157, v156 op_sel_hi:[0,0,0] cbsz:4 blgp:4// 000000004C50: D3AC7000 1803399D D3AD8C44 8512A960
	s_addk_i32 s60, 0x100                                      // 000000004C60: B73C0100
	ds_read_b128 v[28:31], v167 offset:4736                    // 000000004C64: D9FE1280 1C0000A7
	v_mfma_scale_f32_16x16x128_f8f6f4 a[72:75], v[100:103], v[80:83], a[72:75], v157, v156 op_sel_hi:[0,0,0] cbsz:4 blgp:4// 000000004C6C: D3AC6800 1803399D D3AD8C48 8522A164
	s_cmp_lt_i32 s60, s61                                      // 000000004C7C: BF043D3C
	v_mfma_scale_f32_16x16x128_f8f6f4 a[76:79], v[100:103], v[84:87], a[76:79], v157, v156 op_sel_hi:[0,0,0] cbsz:4 blgp:4// 000000004C80: D3AC7800 1803399D D3AD8C4C 8532A964
	ds_read_b128 v[36:39], v167 offset:4800                    // 000000004C90: D9FE12C0 240000A7
	ds_read_b32 v153, v172 offset:2304                         // 000000004C98: D86C0900 990000AC
	s_cbranch_scc0 label_0B70                                  // 000000004CA0: BF840347
	s_waitcnt vmcnt(24) lgkmcnt(5)                             // 000000004CA4: BF8C4578
	s_barrier                                                  // 000000004CA8: BF8A0000
	v_mfma_scale_f32_16x16x128_f8f6f4 a[0:3], v[104:107], v[8:11], a[0:3], v158, v152 op_sel_hi:[0,0,0] cbsz:4 blgp:4// 000000004CAC: D3AC6000 0003319E D3AD8C00 84021168
	s_add_u32 m0, 0, s65                                       // 000000004CBC: 807C4180
	buffer_load_dword v170, s[20:23], 0 offen lds              // 000000004CC0: E0511000 800500AA
	v_mfma_scale_f32_16x16x128_f8f6f4 a[4:7], v[104:107], v[12:15], a[4:7], v158, v152 op_sel_hi:[0,0,0] cbsz:4 blgp:4// 000000004CC8: D3AC7000 0003319E D3AD8C04 84121968
	ds_read_b128 v[40:43], v167 offset:8448                    // 000000004CD8: D9FE2100 280000A7
	v_mfma_scale_f32_16x16x128_f8f6f4 a[8:11], v[108:111], v[8:11], a[8:11], v158, v152 op_sel_hi:[0,0,0] cbsz:4 blgp:4// 000000004CE0: D3AC6800 0003319E D3AD8C08 8422116C
	s_add_u32 m0, 0x400, s65                                   // 000000004CF0: 807C41FF 00000400
	buffer_load_dword v171, s[20:23], 0 offen lds              // 000000004CF8: E0511000 800500AB
	v_mfma_scale_f32_16x16x128_f8f6f4 a[12:15], v[108:111], v[12:15], a[12:15], v158, v152 op_sel_hi:[0,0,0] cbsz:4 blgp:4// 000000004D00: D3AC7800 0003319E D3AD8C0C 8432196C
	ds_read_b128 v[48:51], v167 offset:8512                    // 000000004D10: D9FE2140 300000A7
	v_mfma_scale_f32_16x16x128_f8f6f4 a[0:3], v[112:115], v[16:19], a[0:3], v158, v152 op_sel_hi:[0,0,0] cbsz:4 blgp:4// 000000004D18: D3AC6000 1803319E D3AD8C00 84022170
	s_add_u32 m0, 0, s64                                       // 000000004D28: 807C4080
	buffer_load_dwordx4 v161, s[12:15], 0 offen lds            // 000000004D2C: E05D1000 800300A1
	v_mfma_scale_f32_16x16x128_f8f6f4 a[4:7], v[112:115], v[20:23], a[4:7], v158, v152 op_sel_hi:[0,0,0] cbsz:4 blgp:4// 000000004D34: D3AC7000 1803319E D3AD8C04 84122970
	ds_read_b128 v[44:47], v167 offset:8960                    // 000000004D44: D9FE2300 2C0000A7
	v_mfma_scale_f32_16x16x128_f8f6f4 a[8:11], v[116:119], v[16:19], a[8:11], v158, v152 op_sel_hi:[0,0,0] cbsz:4 blgp:4// 000000004D4C: D3AC6800 1803319E D3AD8C08 84222174
	s_add_u32 m0, 0x1080, s64                                  // 000000004D5C: 807C40FF 00001080
	buffer_load_dwordx4 v162, s[12:15], 0 offen lds            // 000000004D64: E05D1000 800300A2
	v_mfma_scale_f32_16x16x128_f8f6f4 a[12:15], v[116:119], v[20:23], a[12:15], v158, v152 op_sel_hi:[0,0,0] cbsz:4 blgp:4// 000000004D6C: D3AC7800 1803319E D3AD8C0C 84322974
	ds_read_b128 v[52:55], v167 offset:9024                    // 000000004D7C: D9FE2340 340000A7
	ds_read_b32 v154, v172 offset:2560                         // 000000004D84: D86C0A00 9A0000AC
	s_waitcnt lgkmcnt(5)                                       // 000000004D8C: BF8CC57F
	v_mfma_scale_f32_16x16x128_f8f6f4 a[16:19], v[104:107], v[24:27], a[16:19], v158, v153 op_sel_hi:[0,0,0] cbsz:4 blgp:4// 000000004D90: D3AC6000 0003339E D3AD8C10 84423168
	s_add_u32 m0, 0x2100, s64                                  // 000000004DA0: 807C40FF 00002100
	buffer_load_dwordx4 v163, s[12:15], 0 offen lds            // 000000004DA8: E05D1000 800300A3
	v_mfma_scale_f32_16x16x128_f8f6f4 a[20:23], v[104:107], v[28:31], a[20:23], v158, v153 op_sel_hi:[0,0,0] cbsz:4 blgp:4// 000000004DB0: D3AC7000 0003339E D3AD8C14 84523968
	ds_read_b128 v[56:59], v167 offset:12672                   // 000000004DC0: D9FE3180 380000A7
	v_mfma_scale_f32_16x16x128_f8f6f4 a[24:27], v[108:111], v[24:27], a[24:27], v158, v153 op_sel_hi:[0,0,0] cbsz:4 blgp:4// 000000004DC8: D3AC6800 0003339E D3AD8C18 8462316C
	s_add_u32 m0, 0x3180, s64                                  // 000000004DD8: 807C40FF 00003180
	buffer_load_dwordx4 v164, s[12:15], 0 offen lds            // 000000004DE0: E05D1000 800300A4
	v_mfma_scale_f32_16x16x128_f8f6f4 a[28:31], v[108:111], v[28:31], a[28:31], v158, v153 op_sel_hi:[0,0,0] cbsz:4 blgp:4// 000000004DE8: D3AC7800 0003339E D3AD8C1C 8472396C
	ds_read_b128 v[64:67], v167 offset:12736                   // 000000004DF8: D9FE31C0 400000A7
	v_mfma_scale_f32_16x16x128_f8f6f4 a[16:19], v[112:115], v[32:35], a[16:19], v158, v153 op_sel_hi:[0,0,0] cbsz:4 blgp:4// 000000004E00: D3AC6000 1803339E D3AD8C10 84424170
	s_add_u32 m0, 0x4200, s64                                  // 000000004E10: 807C40FF 00004200
	buffer_load_dwordx4 v165, s[12:15], 0 offen lds            // 000000004E18: E05D1000 800300A5
	v_mfma_scale_f32_16x16x128_f8f6f4 a[20:23], v[112:115], v[36:39], a[20:23], v158, v153 op_sel_hi:[0,0,0] cbsz:4 blgp:4// 000000004E20: D3AC7000 1803339E D3AD8C14 84524970
	s_add_u32 s62, 0x400, s60                                  // 000000004E30: 803E3CFF 00000400
	ds_read_b128 v[60:63], v167 offset:13184                   // 000000004E38: D9FE3380 3C0000A7
	v_mfma_scale_f32_16x16x128_f8f6f4 a[24:27], v[116:119], v[32:35], a[24:27], v158, v153 op_sel_hi:[0,0,0] cbsz:4 blgp:4// 000000004E40: D3AC6800 1803339E D3AD8C18 84624174
	s_cmp_lt_u32 s62, s61                                      // 000000004E50: BF0A3D3E
	s_cselect_b32 s66, s66, 0                                  // 000000004E54: 85428042
	v_mfma_scale_f32_16x16x128_f8f6f4 a[28:31], v[116:119], v[36:39], a[28:31], v158, v153 op_sel_hi:[0,0,0] cbsz:4 blgp:4// 000000004E58: D3AC7800 1803339E D3AD8C1C 84724974
	s_cselect_b32 s68, s68, 0                                  // 000000004E68: 85448044
	ds_read_b128 v[68:71], v167 offset:13248                   // 000000004E6C: D9FE33C0 440000A7
	ds_read_b32 v155, v172 offset:2816                         // 000000004E74: D86C0B00 9B0000AC
	s_waitcnt lgkmcnt(5)                                       // 000000004E7C: BF8CC57F
	v_mfma_scale_f32_16x16x128_f8f6f4 a[32:35], v[104:107], v[40:43], a[32:35], v158, v154 op_sel_hi:[0,0,0] cbsz:4 blgp:4// 000000004E80: D3AC6000 0003359E D3AD8C20 84825168
	s_add_u32 s12, s12, s66                                    // 000000004E90: 800C420C
	buffer_load_dwordx4 v[88:91], v173, s[16:19], 0 offen      // 000000004E94: E05C1000 800458AD
	v_mfma_scale_f32_16x16x128_f8f6f4 a[36:39], v[104:107], v[44:47], a[36:39], v158, v154 op_sel_hi:[0,0,0] cbsz:4 blgp:4// 000000004E9C: D3AC7000 0003359E D3AD8C24 84925968
	s_addc_u32 s13, 0, s13                                     // 000000004EAC: 820D0D80
	ds_read_b128 v[72:75], v167 offset:16896                   // 000000004EB0: D9FE4200 480000A7
	v_mfma_scale_f32_16x16x128_f8f6f4 a[40:43], v[108:111], v[40:43], a[40:43], v158, v154 op_sel_hi:[0,0,0] cbsz:4 blgp:4// 000000004EB8: D3AC6800 0003359E D3AD8C28 84A2516C
	s_sub_u32 s14, s14, s66                                    // 000000004EC8: 808E420E
	s_add_u32 s20, s20, s68                                    // 000000004ECC: 80144414
	v_mfma_scale_f32_16x16x128_f8f6f4 a[44:47], v[108:111], v[44:47], a[44:47], v158, v154 op_sel_hi:[0,0,0] cbsz:4 blgp:4// 000000004ED0: D3AC7800 0003359E D3AD8C2C 84B2596C
	s_addc_u32 s21, 0, s21                                     // 000000004EE0: 82151580
	ds_read_b128 v[80:83], v167 offset:16960                   // 000000004EE4: D9FE4240 500000A7
	v_mfma_scale_f32_16x16x128_f8f6f4 a[32:35], v[112:115], v[48:51], a[32:35], v158, v154 op_sel_hi:[0,0,0] cbsz:4 blgp:4// 000000004EEC: D3AC6000 1803359E D3AD8C20 84826170
	s_sub_u32 s22, s22, s68                                    // 000000004EFC: 80964416
	buffer_load_dwordx4 v[92:95], v174, s[16:19], 0 offen      // 000000004F00: E05C1000 80045CAE
	v_mfma_scale_f32_16x16x128_f8f6f4 a[36:39], v[112:115], v[52:55], a[36:39], v158, v154 op_sel_hi:[0,0,0] cbsz:4 blgp:4// 000000004F08: D3AC7000 1803359E D3AD8C24 84926970
	s_add_u32 s63, 0x400, s60                                  // 000000004F18: 803F3CFF 00000400
	ds_read_b128 v[76:79], v167 offset:17408                   // 000000004F20: D9FE4400 4C0000A7
	v_mfma_scale_f32_16x16x128_f8f6f4 a[40:43], v[116:119], v[48:51], a[40:43], v158, v154 op_sel_hi:[0,0,0] cbsz:4 blgp:4// 000000004F28: D3AC6800 1803359E D3AD8C28 84A26174
	s_cmp_lt_u32 s63, s61                                      // 000000004F38: BF0A3D3F
	s_cselect_b32 s67, s67, 0                                  // 000000004F3C: 85438043
	v_mfma_scale_f32_16x16x128_f8f6f4 a[44:47], v[116:119], v[52:55], a[44:47], v158, v154 op_sel_hi:[0,0,0] cbsz:4 blgp:4// 000000004F40: D3AC7800 1803359E D3AD8C2C 84B26974
	s_cselect_b32 s69, s69, 0                                  // 000000004F50: 85458045
	ds_read_b128 v[84:87], v167 offset:17472                   // 000000004F54: D9FE4440 540000A7
	ds_read_b32 v156, v172 offset:3072                         // 000000004F5C: D86C0C00 9C0000AC
	s_waitcnt vmcnt(29) lgkmcnt(5)                             // 000000004F64: BF8C457D
	s_barrier                                                  // 000000004F68: BF8A0000
	v_mfma_scale_f32_16x16x128_f8f6f4 a[48:51], v[104:107], v[56:59], a[48:51], v158, v155 op_sel_hi:[0,0,0] cbsz:4 blgp:4// 000000004F6C: D3AC6000 0003379E D3AD8C30 84C27168
	buffer_load_dwordx4 v[96:99], v173, s[16:19], 0 offen offset:1024// 000000004F7C: E05C1400 800460AD
	v_mfma_scale_f32_16x16x128_f8f6f4 a[52:55], v[104:107], v[60:63], a[52:55], v158, v155 op_sel_hi:[0,0,0] cbsz:4 blgp:4// 000000004F84: D3AC7000 0003379E D3AD8C34 84D27968
	ds_read_b128 v[8:11], v168                                 // 000000004F94: D9FE0000 080000A8
	v_mfma_scale_f32_16x16x128_f8f6f4 a[56:59], v[108:111], v[56:59], a[56:59], v158, v155 op_sel_hi:[0,0,0] cbsz:4 blgp:4// 000000004F9C: D3AC6800 0003379E D3AD8C38 84E2716C
	v_mfma_scale_f32_16x16x128_f8f6f4 a[60:63], v[108:111], v[60:63], a[60:63], v158, v155 op_sel_hi:[0,0,0] cbsz:4 blgp:4// 000000004FAC: D3AC7800 0003379E D3AD8C3C 84F2796C
	ds_read_b128 v[16:19], v168 offset:64                      // 000000004FBC: D9FE0040 100000A8
	v_mfma_scale_f32_16x16x128_f8f6f4 a[48:51], v[112:115], v[64:67], a[48:51], v158, v155 op_sel_hi:[0,0,0] cbsz:4 blgp:4// 000000004FC4: D3AC6000 1803379E D3AD8C30 84C28170
	buffer_load_dwordx4 v[100:103], v174, s[16:19], 0 offen offset:1024// 000000004FD4: E05C1400 800464AE
	v_mfma_scale_f32_16x16x128_f8f6f4 a[52:55], v[112:115], v[68:71], a[52:55], v158, v155 op_sel_hi:[0,0,0] cbsz:4 blgp:4// 000000004FDC: D3AC7000 1803379E D3AD8C34 84D28970
	ds_read_b128 v[12:15], v168 offset:512                     // 000000004FEC: D9FE0200 0C0000A8
	v_mfma_scale_f32_16x16x128_f8f6f4 a[56:59], v[116:119], v[64:67], a[56:59], v158, v155 op_sel_hi:[0,0,0] cbsz:4 blgp:4// 000000004FF4: D3AC6800 1803379E D3AD8C38 84E28174
	v_mfma_scale_f32_16x16x128_f8f6f4 a[60:63], v[116:119], v[68:71], a[60:63], v158, v155 op_sel_hi:[0,0,0] cbsz:4 blgp:4// 000000005004: D3AC7800 1803379E D3AD8C3C 84F28974
	ds_read_b128 v[20:23], v168 offset:576                     // 000000005014: D9FE0240 140000A8
	ds_read_b32 v152, v172 offset:4096                         // 00000000501C: D86C1000 980000AC
	s_waitcnt lgkmcnt(5)                                       // 000000005024: BF8CC57F
	v_mfma_scale_f32_16x16x128_f8f6f4 a[64:67], v[104:107], v[72:75], a[64:67], v158, v156 op_sel_hi:[0,0,0] cbsz:4 blgp:4// 000000005028: D3AC6000 0003399E D3AD8C40 85029168
	buffer_load_dword v157, v175, s[24:27], 0 offen            // 000000005038: E0501000 80069DAF
	v_mfma_scale_f32_16x16x128_f8f6f4 a[68:71], v[104:107], v[76:79], a[68:71], v158, v156 op_sel_hi:[0,0,0] cbsz:4 blgp:4// 000000005040: D3AC7000 0003399E D3AD8C44 85129968
	s_add_u32 s16, s16, s67                                    // 000000005050: 80104310
	ds_read_b128 v[24:27], v168 offset:4224                    // 000000005054: D9FE1080 180000A8
	v_mfma_scale_f32_16x16x128_f8f6f4 a[72:75], v[108:111], v[72:75], a[72:75], v158, v156 op_sel_hi:[0,0,0] cbsz:4 blgp:4// 00000000505C: D3AC6800 0003399E D3AD8C48 8522916C
	s_addc_u32 s17, 0, s17                                     // 00000000506C: 82111180
	s_sub_u32 s18, s18, s67                                    // 000000005070: 80924312
	v_mfma_scale_f32_16x16x128_f8f6f4 a[76:79], v[108:111], v[76:79], a[76:79], v158, v156 op_sel_hi:[0,0,0] cbsz:4 blgp:4// 000000005074: D3AC7800 0003399E D3AD8C4C 8532996C
	s_add_u32 s24, s24, s69                                    // 000000005084: 80184518
	ds_read_b128 v[32:35], v168 offset:4288                    // 000000005088: D9FE10C0 200000A8
	v_mfma_scale_f32_16x16x128_f8f6f4 a[64:67], v[112:115], v[80:83], a[64:67], v158, v156 op_sel_hi:[0,0,0] cbsz:4 blgp:4// 000000005090: D3AC6000 1803399E D3AD8C40 8502A170
	s_addc_u32 s25, 0, s25                                     // 0000000050A0: 82191980
	s_sub_u32 s26, s26, s69                                    // 0000000050A4: 809A451A
	v_mfma_scale_f32_16x16x128_f8f6f4 a[68:71], v[112:115], v[84:87], a[68:71], v158, v156 op_sel_hi:[0,0,0] cbsz:4 blgp:4// 0000000050A8: D3AC7000 1803399E D3AD8C44 8512A970
	s_addk_i32 s60, 0x100                                      // 0000000050B8: B73C0100
	ds_read_b128 v[28:31], v168 offset:4736                    // 0000000050BC: D9FE1280 1C0000A8
	v_mfma_scale_f32_16x16x128_f8f6f4 a[72:75], v[116:119], v[80:83], a[72:75], v158, v156 op_sel_hi:[0,0,0] cbsz:4 blgp:4// 0000000050C4: D3AC6800 1803399E D3AD8C48 8522A174
	s_cmp_lt_i32 s60, s61                                      // 0000000050D4: BF043D3C
	v_mfma_scale_f32_16x16x128_f8f6f4 a[76:79], v[116:119], v[84:87], a[76:79], v158, v156 op_sel_hi:[0,0,0] cbsz:4 blgp:4// 0000000050D8: D3AC7800 1803399E D3AD8C4C 8532A974
	ds_read_b128 v[36:39], v168 offset:4800                    // 0000000050E8: D9FE12C0 240000A8
	ds_read_b32 v153, v172 offset:4352                         // 0000000050F0: D86C1100 990000AC
	s_cbranch_scc0 label_0B70                                  // 0000000050F8: BF840231
	s_waitcnt vmcnt(24) lgkmcnt(5)                             // 0000000050FC: BF8C4578
	s_barrier                                                  // 000000005100: BF8A0000
	v_mfma_scale_f32_16x16x128_f8f6f4 a[0:3], v[120:123], v[8:11], a[0:3], v159, v152 op_sel_hi:[0,0,0] cbsz:4 blgp:4// 000000005104: D3AC6000 0003319F D3AD8C00 84021178
	s_add_u32 m0, 0x800, s65                                   // 000000005114: 807C41FF 00000800
	buffer_load_dword v170, s[20:23], 0 offen lds              // 00000000511C: E0511000 800500AA
	v_mfma_scale_f32_16x16x128_f8f6f4 a[4:7], v[120:123], v[12:15], a[4:7], v159, v152 op_sel_hi:[0,0,0] cbsz:4 blgp:4// 000000005124: D3AC7000 0003319F D3AD8C04 84121978
	ds_read_b128 v[40:43], v168 offset:8448                    // 000000005134: D9FE2100 280000A8
	v_mfma_scale_f32_16x16x128_f8f6f4 a[8:11], v[124:127], v[8:11], a[8:11], v159, v152 op_sel_hi:[0,0,0] cbsz:4 blgp:4// 00000000513C: D3AC6800 0003319F D3AD8C08 8422117C
	s_add_u32 m0, 0xc00, s65                                   // 00000000514C: 807C41FF 00000C00
	buffer_load_dword v171, s[20:23], 0 offen lds              // 000000005154: E0511000 800500AB
	v_mfma_scale_f32_16x16x128_f8f6f4 a[12:15], v[124:127], v[12:15], a[12:15], v159, v152 op_sel_hi:[0,0,0] cbsz:4 blgp:4// 00000000515C: D3AC7800 0003319F D3AD8C0C 8432197C
	ds_read_b128 v[48:51], v168 offset:8512                    // 00000000516C: D9FE2140 300000A8
	v_mfma_scale_f32_16x16x128_f8f6f4 a[0:3], v[128:131], v[16:19], a[0:3], v159, v152 op_sel_hi:[0,0,0] cbsz:4 blgp:4// 000000005174: D3AC6000 1803319F D3AD8C00 84022180
	s_add_u32 m0, 0x5280, s64                                  // 000000005184: 807C40FF 00005280
	buffer_load_dwordx4 v161, s[12:15], 0 offen lds            // 00000000518C: E05D1000 800300A1
	v_mfma_scale_f32_16x16x128_f8f6f4 a[4:7], v[128:131], v[20:23], a[4:7], v159, v152 op_sel_hi:[0,0,0] cbsz:4 blgp:4// 000000005194: D3AC7000 1803319F D3AD8C04 84122980
	ds_read_b128 v[44:47], v168 offset:8960                    // 0000000051A4: D9FE2300 2C0000A8
	v_mfma_scale_f32_16x16x128_f8f6f4 a[8:11], v[132:135], v[16:19], a[8:11], v159, v152 op_sel_hi:[0,0,0] cbsz:4 blgp:4// 0000000051AC: D3AC6800 1803319F D3AD8C08 84222184
	s_add_u32 m0, 0x6300, s64                                  // 0000000051BC: 807C40FF 00006300
	buffer_load_dwordx4 v162, s[12:15], 0 offen lds            // 0000000051C4: E05D1000 800300A2
	v_mfma_scale_f32_16x16x128_f8f6f4 a[12:15], v[132:135], v[20:23], a[12:15], v159, v152 op_sel_hi:[0,0,0] cbsz:4 blgp:4// 0000000051CC: D3AC7800 1803319F D3AD8C0C 84322984
	ds_read_b128 v[52:55], v168 offset:9024                    // 0000000051DC: D9FE2340 340000A8
	ds_read_b32 v154, v172 offset:4608                         // 0000000051E4: D86C1200 9A0000AC
	s_waitcnt lgkmcnt(5)                                       // 0000000051EC: BF8CC57F
	v_mfma_scale_f32_16x16x128_f8f6f4 a[16:19], v[120:123], v[24:27], a[16:19], v159, v153 op_sel_hi:[0,0,0] cbsz:4 blgp:4// 0000000051F0: D3AC6000 0003339F D3AD8C10 84423178
	s_add_u32 m0, 0x7380, s64                                  // 000000005200: 807C40FF 00007380
	buffer_load_dwordx4 v163, s[12:15], 0 offen lds            // 000000005208: E05D1000 800300A3
	v_mfma_scale_f32_16x16x128_f8f6f4 a[20:23], v[120:123], v[28:31], a[20:23], v159, v153 op_sel_hi:[0,0,0] cbsz:4 blgp:4// 000000005210: D3AC7000 0003339F D3AD8C14 84523978
	ds_read_b128 v[56:59], v168 offset:12672                   // 000000005220: D9FE3180 380000A8
	v_mfma_scale_f32_16x16x128_f8f6f4 a[24:27], v[124:127], v[24:27], a[24:27], v159, v153 op_sel_hi:[0,0,0] cbsz:4 blgp:4// 000000005228: D3AC6800 0003339F D3AD8C18 8462317C
	s_add_u32 m0, 0x8400, s64                                  // 000000005238: 807C40FF 00008400
	buffer_load_dwordx4 v164, s[12:15], 0 offen lds            // 000000005240: E05D1000 800300A4
	v_mfma_scale_f32_16x16x128_f8f6f4 a[28:31], v[124:127], v[28:31], a[28:31], v159, v153 op_sel_hi:[0,0,0] cbsz:4 blgp:4// 000000005248: D3AC7800 0003339F D3AD8C1C 8472397C
	ds_read_b128 v[64:67], v168 offset:12736                   // 000000005258: D9FE31C0 400000A8
	v_mfma_scale_f32_16x16x128_f8f6f4 a[16:19], v[128:131], v[32:35], a[16:19], v159, v153 op_sel_hi:[0,0,0] cbsz:4 blgp:4// 000000005260: D3AC6000 1803339F D3AD8C10 84424180
	s_add_u32 m0, 0x9480, s64                                  // 000000005270: 807C40FF 00009480
	buffer_load_dwordx4 v165, s[12:15], 0 offen lds            // 000000005278: E05D1000 800300A5
	v_mfma_scale_f32_16x16x128_f8f6f4 a[20:23], v[128:131], v[36:39], a[20:23], v159, v153 op_sel_hi:[0,0,0] cbsz:4 blgp:4// 000000005280: D3AC7000 1803339F D3AD8C14 84524980
	s_add_u32 s62, 0x400, s60                                  // 000000005290: 803E3CFF 00000400
	ds_read_b128 v[60:63], v168 offset:13184                   // 000000005298: D9FE3380 3C0000A8
	v_mfma_scale_f32_16x16x128_f8f6f4 a[24:27], v[132:135], v[32:35], a[24:27], v159, v153 op_sel_hi:[0,0,0] cbsz:4 blgp:4// 0000000052A0: D3AC6800 1803339F D3AD8C18 84624184
	s_cmp_lt_u32 s62, s61                                      // 0000000052B0: BF0A3D3E
	s_cselect_b32 s66, s66, 0                                  // 0000000052B4: 85428042
	v_mfma_scale_f32_16x16x128_f8f6f4 a[28:31], v[132:135], v[36:39], a[28:31], v159, v153 op_sel_hi:[0,0,0] cbsz:4 blgp:4// 0000000052B8: D3AC7800 1803339F D3AD8C1C 84724984
	s_cselect_b32 s68, s68, 0                                  // 0000000052C8: 85448044
	ds_read_b128 v[68:71], v168 offset:13248                   // 0000000052CC: D9FE33C0 440000A8
	ds_read_b32 v155, v172 offset:4864                         // 0000000052D4: D86C1300 9B0000AC
	s_waitcnt lgkmcnt(5)                                       // 0000000052DC: BF8CC57F
	v_mfma_scale_f32_16x16x128_f8f6f4 a[32:35], v[120:123], v[40:43], a[32:35], v159, v154 op_sel_hi:[0,0,0] cbsz:4 blgp:4// 0000000052E0: D3AC6000 0003359F D3AD8C20 84825178
	s_add_u32 s12, s12, s66                                    // 0000000052F0: 800C420C
	buffer_load_dwordx4 v[104:107], v173, s[16:19], 0 offen    // 0000000052F4: E05C1000 800468AD
	v_mfma_scale_f32_16x16x128_f8f6f4 a[36:39], v[120:123], v[44:47], a[36:39], v159, v154 op_sel_hi:[0,0,0] cbsz:4 blgp:4// 0000000052FC: D3AC7000 0003359F D3AD8C24 84925978
	s_addc_u32 s13, 0, s13                                     // 00000000530C: 820D0D80
	ds_read_b128 v[72:75], v168 offset:16896                   // 000000005310: D9FE4200 480000A8
	v_mfma_scale_f32_16x16x128_f8f6f4 a[40:43], v[124:127], v[40:43], a[40:43], v159, v154 op_sel_hi:[0,0,0] cbsz:4 blgp:4// 000000005318: D3AC6800 0003359F D3AD8C28 84A2517C
	s_sub_u32 s14, s14, s66                                    // 000000005328: 808E420E
	s_add_u32 s20, s20, s68                                    // 00000000532C: 80144414
	v_mfma_scale_f32_16x16x128_f8f6f4 a[44:47], v[124:127], v[44:47], a[44:47], v159, v154 op_sel_hi:[0,0,0] cbsz:4 blgp:4// 000000005330: D3AC7800 0003359F D3AD8C2C 84B2597C
	s_addc_u32 s21, 0, s21                                     // 000000005340: 82151580
	ds_read_b128 v[80:83], v168 offset:16960                   // 000000005344: D9FE4240 500000A8
	v_mfma_scale_f32_16x16x128_f8f6f4 a[32:35], v[128:131], v[48:51], a[32:35], v159, v154 op_sel_hi:[0,0,0] cbsz:4 blgp:4// 00000000534C: D3AC6000 1803359F D3AD8C20 84826180
	s_sub_u32 s22, s22, s68                                    // 00000000535C: 80964416
	buffer_load_dwordx4 v[108:111], v174, s[16:19], 0 offen    // 000000005360: E05C1000 80046CAE
	v_mfma_scale_f32_16x16x128_f8f6f4 a[36:39], v[128:131], v[52:55], a[36:39], v159, v154 op_sel_hi:[0,0,0] cbsz:4 blgp:4// 000000005368: D3AC7000 1803359F D3AD8C24 84926980
	s_add_u32 s63, 0x400, s60                                  // 000000005378: 803F3CFF 00000400
	ds_read_b128 v[76:79], v168 offset:17408                   // 000000005380: D9FE4400 4C0000A8
	v_mfma_scale_f32_16x16x128_f8f6f4 a[40:43], v[132:135], v[48:51], a[40:43], v159, v154 op_sel_hi:[0,0,0] cbsz:4 blgp:4// 000000005388: D3AC6800 1803359F D3AD8C28 84A26184
	s_cmp_lt_u32 s63, s61                                      // 000000005398: BF0A3D3F
	s_cselect_b32 s67, s67, 0                                  // 00000000539C: 85438043
	v_mfma_scale_f32_16x16x128_f8f6f4 a[44:47], v[132:135], v[52:55], a[44:47], v159, v154 op_sel_hi:[0,0,0] cbsz:4 blgp:4// 0000000053A0: D3AC7800 1803359F D3AD8C2C 84B26984
	s_cselect_b32 s69, s69, 0                                  // 0000000053B0: 85458045
	ds_read_b128 v[84:87], v168 offset:17472                   // 0000000053B4: D9FE4440 540000A8
	ds_read_b32 v156, v172 offset:5120                         // 0000000053BC: D86C1400 9C0000AC
	s_waitcnt vmcnt(29) lgkmcnt(5)                             // 0000000053C4: BF8C457D
	s_barrier                                                  // 0000000053C8: BF8A0000
	v_mfma_scale_f32_16x16x128_f8f6f4 a[48:51], v[120:123], v[56:59], a[48:51], v159, v155 op_sel_hi:[0,0,0] cbsz:4 blgp:4// 0000000053CC: D3AC6000 0003379F D3AD8C30 84C27178
	buffer_load_dwordx4 v[112:115], v173, s[16:19], 0 offen offset:1024// 0000000053DC: E05C1400 800470AD
	v_mfma_scale_f32_16x16x128_f8f6f4 a[52:55], v[120:123], v[60:63], a[52:55], v159, v155 op_sel_hi:[0,0,0] cbsz:4 blgp:4// 0000000053E4: D3AC7000 0003379F D3AD8C34 84D27978
	ds_read_b128 v[8:11], v169                                 // 0000000053F4: D9FE0000 080000A9
	v_mfma_scale_f32_16x16x128_f8f6f4 a[56:59], v[124:127], v[56:59], a[56:59], v159, v155 op_sel_hi:[0,0,0] cbsz:4 blgp:4// 0000000053FC: D3AC6800 0003379F D3AD8C38 84E2717C
	v_mfma_scale_f32_16x16x128_f8f6f4 a[60:63], v[124:127], v[60:63], a[60:63], v159, v155 op_sel_hi:[0,0,0] cbsz:4 blgp:4// 00000000540C: D3AC7800 0003379F D3AD8C3C 84F2797C
	ds_read_b128 v[16:19], v169 offset:64                      // 00000000541C: D9FE0040 100000A9
	v_mfma_scale_f32_16x16x128_f8f6f4 a[48:51], v[128:131], v[64:67], a[48:51], v159, v155 op_sel_hi:[0,0,0] cbsz:4 blgp:4// 000000005424: D3AC6000 1803379F D3AD8C30 84C28180
	buffer_load_dwordx4 v[116:119], v174, s[16:19], 0 offen offset:1024// 000000005434: E05C1400 800474AE
	v_mfma_scale_f32_16x16x128_f8f6f4 a[52:55], v[128:131], v[68:71], a[52:55], v159, v155 op_sel_hi:[0,0,0] cbsz:4 blgp:4// 00000000543C: D3AC7000 1803379F D3AD8C34 84D28980
	ds_read_b128 v[12:15], v169 offset:512                     // 00000000544C: D9FE0200 0C0000A9
	v_mfma_scale_f32_16x16x128_f8f6f4 a[56:59], v[132:135], v[64:67], a[56:59], v159, v155 op_sel_hi:[0,0,0] cbsz:4 blgp:4// 000000005454: D3AC6800 1803379F D3AD8C38 84E28184
	v_mfma_scale_f32_16x16x128_f8f6f4 a[60:63], v[132:135], v[68:71], a[60:63], v159, v155 op_sel_hi:[0,0,0] cbsz:4 blgp:4// 000000005464: D3AC7800 1803379F D3AD8C3C 84F28984
	ds_read_b128 v[20:23], v169 offset:576                     // 000000005474: D9FE0240 140000A9
	ds_read_b32 v152, v172 offset:6144                         // 00000000547C: D86C1800 980000AC
	s_waitcnt lgkmcnt(5)                                       // 000000005484: BF8CC57F
	v_mfma_scale_f32_16x16x128_f8f6f4 a[64:67], v[120:123], v[72:75], a[64:67], v159, v156 op_sel_hi:[0,0,0] cbsz:4 blgp:4// 000000005488: D3AC6000 0003399F D3AD8C40 85029178
	buffer_load_dword v158, v175, s[24:27], 0 offen            // 000000005498: E0501000 80069EAF
	v_mfma_scale_f32_16x16x128_f8f6f4 a[68:71], v[120:123], v[76:79], a[68:71], v159, v156 op_sel_hi:[0,0,0] cbsz:4 blgp:4// 0000000054A0: D3AC7000 0003399F D3AD8C44 85129978
	s_add_u32 s16, s16, s67                                    // 0000000054B0: 80104310
	ds_read_b128 v[24:27], v169 offset:4224                    // 0000000054B4: D9FE1080 180000A9
	v_mfma_scale_f32_16x16x128_f8f6f4 a[72:75], v[124:127], v[72:75], a[72:75], v159, v156 op_sel_hi:[0,0,0] cbsz:4 blgp:4// 0000000054BC: D3AC6800 0003399F D3AD8C48 8522917C
	s_addc_u32 s17, 0, s17                                     // 0000000054CC: 82111180
	s_sub_u32 s18, s18, s67                                    // 0000000054D0: 80924312
	v_mfma_scale_f32_16x16x128_f8f6f4 a[76:79], v[124:127], v[76:79], a[76:79], v159, v156 op_sel_hi:[0,0,0] cbsz:4 blgp:4// 0000000054D4: D3AC7800 0003399F D3AD8C4C 8532997C
	s_add_u32 s24, s24, s69                                    // 0000000054E4: 80184518
	ds_read_b128 v[32:35], v169 offset:4288                    // 0000000054E8: D9FE10C0 200000A9
	v_mfma_scale_f32_16x16x128_f8f6f4 a[64:67], v[128:131], v[80:83], a[64:67], v159, v156 op_sel_hi:[0,0,0] cbsz:4 blgp:4// 0000000054F0: D3AC6000 1803399F D3AD8C40 8502A180
	s_addc_u32 s25, 0, s25                                     // 000000005500: 82191980
	s_sub_u32 s26, s26, s69                                    // 000000005504: 809A451A
	v_mfma_scale_f32_16x16x128_f8f6f4 a[68:71], v[128:131], v[84:87], a[68:71], v159, v156 op_sel_hi:[0,0,0] cbsz:4 blgp:4// 000000005508: D3AC7000 1803399F D3AD8C44 8512A980
	s_addk_i32 s60, 0x100                                      // 000000005518: B73C0100
	ds_read_b128 v[28:31], v169 offset:4736                    // 00000000551C: D9FE1280 1C0000A9
	v_mfma_scale_f32_16x16x128_f8f6f4 a[72:75], v[132:135], v[80:83], a[72:75], v159, v156 op_sel_hi:[0,0,0] cbsz:4 blgp:4// 000000005524: D3AC6800 1803399F D3AD8C48 8522A184
	s_cmp_lt_i32 s60, s61                                      // 000000005534: BF043D3C
	v_mfma_scale_f32_16x16x128_f8f6f4 a[76:79], v[132:135], v[84:87], a[76:79], v159, v156 op_sel_hi:[0,0,0] cbsz:4 blgp:4// 000000005538: D3AC7800 1803399F D3AD8C4C 8532A984
	ds_read_b128 v[36:39], v169 offset:4800                    // 000000005548: D9FE12C0 240000A9
	ds_read_b32 v153, v172 offset:6400                         // 000000005550: D86C1900 990000AC
	s_cbranch_scc0 label_0B70                                  // 000000005558: BF840119
	s_waitcnt vmcnt(24) lgkmcnt(5)                             // 00000000555C: BF8C4578
	s_barrier                                                  // 000000005560: BF8A0000
	v_mfma_scale_f32_16x16x128_f8f6f4 a[0:3], v[136:139], v[8:11], a[0:3], v160, v152 op_sel_hi:[0,0,0] cbsz:4 blgp:4// 000000005564: D3AC6000 000331A0 D3AD8C00 84021188
	s_add_u32 m0, 0x1000, s65                                  // 000000005574: 807C41FF 00001000
	buffer_load_dword v170, s[20:23], 0 offen lds              // 00000000557C: E0511000 800500AA
	v_mfma_scale_f32_16x16x128_f8f6f4 a[4:7], v[136:139], v[12:15], a[4:7], v160, v152 op_sel_hi:[0,0,0] cbsz:4 blgp:4// 000000005584: D3AC7000 000331A0 D3AD8C04 84121988
	ds_read_b128 v[40:43], v169 offset:8448                    // 000000005594: D9FE2100 280000A9
	v_mfma_scale_f32_16x16x128_f8f6f4 a[8:11], v[140:143], v[8:11], a[8:11], v160, v152 op_sel_hi:[0,0,0] cbsz:4 blgp:4// 00000000559C: D3AC6800 000331A0 D3AD8C08 8422118C
	s_add_u32 m0, 0x1400, s65                                  // 0000000055AC: 807C41FF 00001400
	buffer_load_dword v171, s[20:23], 0 offen lds              // 0000000055B4: E0511000 800500AB
	v_mfma_scale_f32_16x16x128_f8f6f4 a[12:15], v[140:143], v[12:15], a[12:15], v160, v152 op_sel_hi:[0,0,0] cbsz:4 blgp:4// 0000000055BC: D3AC7800 000331A0 D3AD8C0C 8432198C
	ds_read_b128 v[48:51], v169 offset:8512                    // 0000000055CC: D9FE2140 300000A9
	v_mfma_scale_f32_16x16x128_f8f6f4 a[0:3], v[144:147], v[16:19], a[0:3], v160, v152 op_sel_hi:[0,0,0] cbsz:4 blgp:4// 0000000055D4: D3AC6000 180331A0 D3AD8C00 84022190
	s_add_u32 m0, 0xa500, s64                                  // 0000000055E4: 807C40FF 0000A500
	buffer_load_dwordx4 v161, s[12:15], 0 offen lds            // 0000000055EC: E05D1000 800300A1
	v_mfma_scale_f32_16x16x128_f8f6f4 a[4:7], v[144:147], v[20:23], a[4:7], v160, v152 op_sel_hi:[0,0,0] cbsz:4 blgp:4// 0000000055F4: D3AC7000 180331A0 D3AD8C04 84122990
	ds_read_b128 v[44:47], v169 offset:8960                    // 000000005604: D9FE2300 2C0000A9
	v_mfma_scale_f32_16x16x128_f8f6f4 a[8:11], v[148:151], v[16:19], a[8:11], v160, v152 op_sel_hi:[0,0,0] cbsz:4 blgp:4// 00000000560C: D3AC6800 180331A0 D3AD8C08 84222194
	s_add_u32 m0, 0xb580, s64                                  // 00000000561C: 807C40FF 0000B580
	buffer_load_dwordx4 v162, s[12:15], 0 offen lds            // 000000005624: E05D1000 800300A2
	v_mfma_scale_f32_16x16x128_f8f6f4 a[12:15], v[148:151], v[20:23], a[12:15], v160, v152 op_sel_hi:[0,0,0] cbsz:4 blgp:4// 00000000562C: D3AC7800 180331A0 D3AD8C0C 84322994
	ds_read_b128 v[52:55], v169 offset:9024                    // 00000000563C: D9FE2340 340000A9
	ds_read_b32 v154, v172 offset:6656                         // 000000005644: D86C1A00 9A0000AC
	s_waitcnt lgkmcnt(5)                                       // 00000000564C: BF8CC57F
	v_mfma_scale_f32_16x16x128_f8f6f4 a[16:19], v[136:139], v[24:27], a[16:19], v160, v153 op_sel_hi:[0,0,0] cbsz:4 blgp:4// 000000005650: D3AC6000 000333A0 D3AD8C10 84423188
	s_add_u32 m0, 0xc600, s64                                  // 000000005660: 807C40FF 0000C600
	buffer_load_dwordx4 v163, s[12:15], 0 offen lds            // 000000005668: E05D1000 800300A3
	v_mfma_scale_f32_16x16x128_f8f6f4 a[20:23], v[136:139], v[28:31], a[20:23], v160, v153 op_sel_hi:[0,0,0] cbsz:4 blgp:4// 000000005670: D3AC7000 000333A0 D3AD8C14 84523988
	ds_read_b128 v[56:59], v169 offset:12672                   // 000000005680: D9FE3180 380000A9
	v_mfma_scale_f32_16x16x128_f8f6f4 a[24:27], v[140:143], v[24:27], a[24:27], v160, v153 op_sel_hi:[0,0,0] cbsz:4 blgp:4// 000000005688: D3AC6800 000333A0 D3AD8C18 8462318C
	s_add_u32 m0, 0xd680, s64                                  // 000000005698: 807C40FF 0000D680
	buffer_load_dwordx4 v164, s[12:15], 0 offen lds            // 0000000056A0: E05D1000 800300A4
	v_mfma_scale_f32_16x16x128_f8f6f4 a[28:31], v[140:143], v[28:31], a[28:31], v160, v153 op_sel_hi:[0,0,0] cbsz:4 blgp:4// 0000000056A8: D3AC7800 000333A0 D3AD8C1C 8472398C
	ds_read_b128 v[64:67], v169 offset:12736                   // 0000000056B8: D9FE31C0 400000A9
	v_mfma_scale_f32_16x16x128_f8f6f4 a[16:19], v[144:147], v[32:35], a[16:19], v160, v153 op_sel_hi:[0,0,0] cbsz:4 blgp:4// 0000000056C0: D3AC6000 180333A0 D3AD8C10 84424190
	s_add_u32 m0, 0xe700, s64                                  // 0000000056D0: 807C40FF 0000E700
	buffer_load_dwordx4 v165, s[12:15], 0 offen lds            // 0000000056D8: E05D1000 800300A5
	v_mfma_scale_f32_16x16x128_f8f6f4 a[20:23], v[144:147], v[36:39], a[20:23], v160, v153 op_sel_hi:[0,0,0] cbsz:4 blgp:4// 0000000056E0: D3AC7000 180333A0 D3AD8C14 84524990
	s_add_u32 s62, 0x400, s60                                  // 0000000056F0: 803E3CFF 00000400
	ds_read_b128 v[60:63], v169 offset:13184                   // 0000000056F8: D9FE3380 3C0000A9
	v_mfma_scale_f32_16x16x128_f8f6f4 a[24:27], v[148:151], v[32:35], a[24:27], v160, v153 op_sel_hi:[0,0,0] cbsz:4 blgp:4// 000000005700: D3AC6800 180333A0 D3AD8C18 84624194
	s_cmp_lt_u32 s62, s61                                      // 000000005710: BF0A3D3E
	s_cselect_b32 s66, s66, 0                                  // 000000005714: 85428042
	v_mfma_scale_f32_16x16x128_f8f6f4 a[28:31], v[148:151], v[36:39], a[28:31], v160, v153 op_sel_hi:[0,0,0] cbsz:4 blgp:4// 000000005718: D3AC7800 180333A0 D3AD8C1C 84724994
	s_cselect_b32 s68, s68, 0                                  // 000000005728: 85448044
	ds_read_b128 v[68:71], v169 offset:13248                   // 00000000572C: D9FE33C0 440000A9
	ds_read_b32 v155, v172 offset:6912                         // 000000005734: D86C1B00 9B0000AC
	s_waitcnt lgkmcnt(5)                                       // 00000000573C: BF8CC57F
	v_mfma_scale_f32_16x16x128_f8f6f4 a[32:35], v[136:139], v[40:43], a[32:35], v160, v154 op_sel_hi:[0,0,0] cbsz:4 blgp:4// 000000005740: D3AC6000 000335A0 D3AD8C20 84825188
	s_add_u32 s12, s12, s66                                    // 000000005750: 800C420C
	buffer_load_dwordx4 v[120:123], v173, s[16:19], 0 offen    // 000000005754: E05C1000 800478AD
	v_mfma_scale_f32_16x16x128_f8f6f4 a[36:39], v[136:139], v[44:47], a[36:39], v160, v154 op_sel_hi:[0,0,0] cbsz:4 blgp:4// 00000000575C: D3AC7000 000335A0 D3AD8C24 84925988
	s_addc_u32 s13, 0, s13                                     // 00000000576C: 820D0D80
	ds_read_b128 v[72:75], v169 offset:16896                   // 000000005770: D9FE4200 480000A9
	v_mfma_scale_f32_16x16x128_f8f6f4 a[40:43], v[140:143], v[40:43], a[40:43], v160, v154 op_sel_hi:[0,0,0] cbsz:4 blgp:4// 000000005778: D3AC6800 000335A0 D3AD8C28 84A2518C
	s_sub_u32 s14, s14, s66                                    // 000000005788: 808E420E
	s_add_u32 s20, s20, s68                                    // 00000000578C: 80144414
	v_mfma_scale_f32_16x16x128_f8f6f4 a[44:47], v[140:143], v[44:47], a[44:47], v160, v154 op_sel_hi:[0,0,0] cbsz:4 blgp:4// 000000005790: D3AC7800 000335A0 D3AD8C2C 84B2598C
	s_addc_u32 s21, 0, s21                                     // 0000000057A0: 82151580
	ds_read_b128 v[80:83], v169 offset:16960                   // 0000000057A4: D9FE4240 500000A9
	v_mfma_scale_f32_16x16x128_f8f6f4 a[32:35], v[144:147], v[48:51], a[32:35], v160, v154 op_sel_hi:[0,0,0] cbsz:4 blgp:4// 0000000057AC: D3AC6000 180335A0 D3AD8C20 84826190
	s_sub_u32 s22, s22, s68                                    // 0000000057BC: 80964416
	buffer_load_dwordx4 v[124:127], v174, s[16:19], 0 offen    // 0000000057C0: E05C1000 80047CAE
	v_mfma_scale_f32_16x16x128_f8f6f4 a[36:39], v[144:147], v[52:55], a[36:39], v160, v154 op_sel_hi:[0,0,0] cbsz:4 blgp:4// 0000000057C8: D3AC7000 180335A0 D3AD8C24 84926990
	s_add_u32 s63, 0x400, s60                                  // 0000000057D8: 803F3CFF 00000400
	ds_read_b128 v[76:79], v169 offset:17408                   // 0000000057E0: D9FE4400 4C0000A9
	v_mfma_scale_f32_16x16x128_f8f6f4 a[40:43], v[148:151], v[48:51], a[40:43], v160, v154 op_sel_hi:[0,0,0] cbsz:4 blgp:4// 0000000057E8: D3AC6800 180335A0 D3AD8C28 84A26194
	s_cmp_lt_u32 s63, s61                                      // 0000000057F8: BF0A3D3F
	s_cselect_b32 s67, s67, 0                                  // 0000000057FC: 85438043
	v_mfma_scale_f32_16x16x128_f8f6f4 a[44:47], v[148:151], v[52:55], a[44:47], v160, v154 op_sel_hi:[0,0,0] cbsz:4 blgp:4// 000000005800: D3AC7800 180335A0 D3AD8C2C 84B26994
	s_cselect_b32 s69, s69, 0                                  // 000000005810: 85458045
	ds_read_b128 v[84:87], v169 offset:17472                   // 000000005814: D9FE4440 540000A9
	ds_read_b32 v156, v172 offset:7168                         // 00000000581C: D86C1C00 9C0000AC
	s_waitcnt vmcnt(29) lgkmcnt(5)                             // 000000005824: BF8C457D
	s_barrier                                                  // 000000005828: BF8A0000
	v_mfma_scale_f32_16x16x128_f8f6f4 a[48:51], v[136:139], v[56:59], a[48:51], v160, v155 op_sel_hi:[0,0,0] cbsz:4 blgp:4// 00000000582C: D3AC6000 000337A0 D3AD8C30 84C27188
	buffer_load_dwordx4 v[128:131], v173, s[16:19], 0 offen offset:1024// 00000000583C: E05C1400 800480AD
	v_mfma_scale_f32_16x16x128_f8f6f4 a[52:55], v[136:139], v[60:63], a[52:55], v160, v155 op_sel_hi:[0,0,0] cbsz:4 blgp:4// 000000005844: D3AC7000 000337A0 D3AD8C34 84D27988
	ds_read_b128 v[8:11], v166                                 // 000000005854: D9FE0000 080000A6
	v_mfma_scale_f32_16x16x128_f8f6f4 a[56:59], v[140:143], v[56:59], a[56:59], v160, v155 op_sel_hi:[0,0,0] cbsz:4 blgp:4// 00000000585C: D3AC6800 000337A0 D3AD8C38 84E2718C
	v_mfma_scale_f32_16x16x128_f8f6f4 a[60:63], v[140:143], v[60:63], a[60:63], v160, v155 op_sel_hi:[0,0,0] cbsz:4 blgp:4// 00000000586C: D3AC7800 000337A0 D3AD8C3C 84F2798C
	ds_read_b128 v[16:19], v166 offset:64                      // 00000000587C: D9FE0040 100000A6
	v_mfma_scale_f32_16x16x128_f8f6f4 a[48:51], v[144:147], v[64:67], a[48:51], v160, v155 op_sel_hi:[0,0,0] cbsz:4 blgp:4// 000000005884: D3AC6000 180337A0 D3AD8C30 84C28190
	buffer_load_dwordx4 v[132:135], v174, s[16:19], 0 offen offset:1024// 000000005894: E05C1400 800484AE
	v_mfma_scale_f32_16x16x128_f8f6f4 a[52:55], v[144:147], v[68:71], a[52:55], v160, v155 op_sel_hi:[0,0,0] cbsz:4 blgp:4// 00000000589C: D3AC7000 180337A0 D3AD8C34 84D28990
	ds_read_b128 v[12:15], v166 offset:512                     // 0000000058AC: D9FE0200 0C0000A6
	v_mfma_scale_f32_16x16x128_f8f6f4 a[56:59], v[148:151], v[64:67], a[56:59], v160, v155 op_sel_hi:[0,0,0] cbsz:4 blgp:4// 0000000058B4: D3AC6800 180337A0 D3AD8C38 84E28194
	v_mfma_scale_f32_16x16x128_f8f6f4 a[60:63], v[148:151], v[68:71], a[60:63], v160, v155 op_sel_hi:[0,0,0] cbsz:4 blgp:4// 0000000058C4: D3AC7800 180337A0 D3AD8C3C 84F28994
	ds_read_b128 v[20:23], v166 offset:576                     // 0000000058D4: D9FE0240 140000A6
	ds_read_b32 v152, v172                                     // 0000000058DC: D86C0000 980000AC
	s_waitcnt lgkmcnt(5)                                       // 0000000058E4: BF8CC57F
	v_mfma_scale_f32_16x16x128_f8f6f4 a[64:67], v[136:139], v[72:75], a[64:67], v160, v156 op_sel_hi:[0,0,0] cbsz:4 blgp:4// 0000000058E8: D3AC6000 000339A0 D3AD8C40 85029188
	buffer_load_dword v159, v175, s[24:27], 0 offen            // 0000000058F8: E0501000 80069FAF
	v_mfma_scale_f32_16x16x128_f8f6f4 a[68:71], v[136:139], v[76:79], a[68:71], v160, v156 op_sel_hi:[0,0,0] cbsz:4 blgp:4// 000000005900: D3AC7000 000339A0 D3AD8C44 85129988
	s_add_u32 s16, s16, s67                                    // 000000005910: 80104310
	ds_read_b128 v[24:27], v166 offset:4224                    // 000000005914: D9FE1080 180000A6
	v_mfma_scale_f32_16x16x128_f8f6f4 a[72:75], v[140:143], v[72:75], a[72:75], v160, v156 op_sel_hi:[0,0,0] cbsz:4 blgp:4// 00000000591C: D3AC6800 000339A0 D3AD8C48 8522918C
	s_addc_u32 s17, 0, s17                                     // 00000000592C: 82111180
	s_sub_u32 s18, s18, s67                                    // 000000005930: 80924312
	v_mfma_scale_f32_16x16x128_f8f6f4 a[76:79], v[140:143], v[76:79], a[76:79], v160, v156 op_sel_hi:[0,0,0] cbsz:4 blgp:4// 000000005934: D3AC7800 000339A0 D3AD8C4C 8532998C
	s_add_u32 s24, s24, s69                                    // 000000005944: 80184518
	ds_read_b128 v[32:35], v166 offset:4288                    // 000000005948: D9FE10C0 200000A6
	v_mfma_scale_f32_16x16x128_f8f6f4 a[64:67], v[144:147], v[80:83], a[64:67], v160, v156 op_sel_hi:[0,0,0] cbsz:4 blgp:4// 000000005950: D3AC6000 180339A0 D3AD8C40 8502A190
	s_addc_u32 s25, 0, s25                                     // 000000005960: 82191980
	s_sub_u32 s26, s26, s69                                    // 000000005964: 809A451A
	v_mfma_scale_f32_16x16x128_f8f6f4 a[68:71], v[144:147], v[84:87], a[68:71], v160, v156 op_sel_hi:[0,0,0] cbsz:4 blgp:4// 000000005968: D3AC7000 180339A0 D3AD8C44 8512A990
	s_addk_i32 s60, 0x100                                      // 000000005978: B73C0100
	ds_read_b128 v[28:31], v166 offset:4736                    // 00000000597C: D9FE1280 1C0000A6
	v_mfma_scale_f32_16x16x128_f8f6f4 a[72:75], v[148:151], v[80:83], a[72:75], v160, v156 op_sel_hi:[0,0,0] cbsz:4 blgp:4// 000000005984: D3AC6800 180339A0 D3AD8C48 8522A194
	s_cmp_lt_i32 s60, s61                                      // 000000005994: BF043D3C
	v_mfma_scale_f32_16x16x128_f8f6f4 a[76:79], v[148:151], v[84:87], a[76:79], v160, v156 op_sel_hi:[0,0,0] cbsz:4 blgp:4// 000000005998: D3AC7800 180339A0 D3AD8C4C 8532A994
	ds_read_b128 v[36:39], v166 offset:4800                    // 0000000059A8: D9FE12C0 240000A6
	ds_read_b32 v153, v172 offset:256                          // 0000000059B0: D86C0100 990000AC
	s_cbranch_scc0 label_0B70                                  // 0000000059B8: BF840001
	s_branch label_0711                                        // 0000000059BC: BF82FBA1

00000000000059c0 <label_0B70>:
	s_waitcnt lgkmcnt(0)                                       // 0000000059C0: BF8CC07F
	s_mul_i32 s62, s47, 0x80                                   // 0000000059C4: 923EFF2F 00000080
	s_mul_i32 s63, s46, 32                                     // 0000000059CC: 923FA02E
	s_add_u32 s60, s62, s63                                    // 0000000059D0: 803C3F3E
	s_add_u32 s62, s60, 32                                     // 0000000059D4: 803EA03C
	s_cmp_lt_i32 s44, s62                                      // 0000000059D8: BF043E2C
	s_cbranch_scc1 label_0CBB                                  // 0000000059DC: BF850143
	s_mul_i32 s62, s36, 16                                     // 0000000059E0: 923E9024
	v_add_u32_e32 v180, 0, v176                                // 0000000059E4: 69696080
	v_accvgpr_read_b32 v8, a0                                  // 0000000059E8: D3D84008 18000100
	v_accvgpr_read_b32 v9, a1                                  // 0000000059F0: D3D84009 18000101
	v_accvgpr_read_b32 v10, a2                                 // 0000000059F8: D3D8400A 18000102
	v_accvgpr_read_b32 v11, a3                                 // 000000005A00: D3D8400B 18000103
	v_accvgpr_read_b32 v12, a8                                 // 000000005A08: D3D8400C 18000108
	v_accvgpr_read_b32 v13, a9                                 // 000000005A10: D3D8400D 18000109
	v_accvgpr_read_b32 v14, a10                                // 000000005A18: D3D8400E 1800010A
	v_accvgpr_read_b32 v15, a11                                // 000000005A20: D3D8400F 1800010B
	v_cvt_pk_bf16_f32 v16, v8, v9                              // 000000005A28: D2680010 00021308
	v_cvt_pk_bf16_f32 v17, v10, v11                            // 000000005A30: D2680011 0002170A
	v_cvt_pk_bf16_f32 v18, v12, v13                            // 000000005A38: D2680012 00021B0C
	v_cvt_pk_bf16_f32 v19, v14, v15                            // 000000005A40: D2680013 00021F0E
	s_nop 1                                                    // 000000005A48: BF800001
	v_permlane16_swap_b32_e32 v16, v18                         // 000000005A4C: 7E20B312
	s_nop 1                                                    // 000000005A50: BF800001
	v_permlane16_swap_b32_e32 v17, v19                         // 000000005A54: 7E22B313
	s_nop 1                                                    // 000000005A58: BF800001
	buffer_store_dwordx4 v[16:19], v180, s[4:7], 0 offen       // 000000005A5C: E07C1000 800110B4
	v_add_u32_e32 v180, s62, v180                              // 000000005A64: 6969683E
	v_accvgpr_read_b32 v8, a4                                  // 000000005A68: D3D84008 18000104
	v_accvgpr_read_b32 v9, a5                                  // 000000005A70: D3D84009 18000105
	v_accvgpr_read_b32 v10, a6                                 // 000000005A78: D3D8400A 18000106
	v_accvgpr_read_b32 v11, a7                                 // 000000005A80: D3D8400B 18000107
	v_accvgpr_read_b32 v12, a12                                // 000000005A88: D3D8400C 1800010C
	v_accvgpr_read_b32 v13, a13                                // 000000005A90: D3D8400D 1800010D
	v_accvgpr_read_b32 v14, a14                                // 000000005A98: D3D8400E 1800010E
	v_accvgpr_read_b32 v15, a15                                // 000000005AA0: D3D8400F 1800010F
	v_cvt_pk_bf16_f32 v16, v8, v9                              // 000000005AA8: D2680010 00021308
	v_cvt_pk_bf16_f32 v17, v10, v11                            // 000000005AB0: D2680011 0002170A
	v_cvt_pk_bf16_f32 v18, v12, v13                            // 000000005AB8: D2680012 00021B0C
	v_cvt_pk_bf16_f32 v19, v14, v15                            // 000000005AC0: D2680013 00021F0E
	s_nop 1                                                    // 000000005AC8: BF800001
	v_permlane16_swap_b32_e32 v16, v18                         // 000000005ACC: 7E20B312
	s_nop 1                                                    // 000000005AD0: BF800001
	v_permlane16_swap_b32_e32 v17, v19                         // 000000005AD4: 7E22B313
	s_nop 1                                                    // 000000005AD8: BF800001
	buffer_store_dwordx4 v[16:19], v180, s[4:7], 0 offen       // 000000005ADC: E07C1000 800110B4
	v_add_u32_e32 v180, s62, v180                              // 000000005AE4: 6969683E
	v_accvgpr_read_b32 v8, a16                                 // 000000005AE8: D3D84008 18000110
	v_accvgpr_read_b32 v9, a17                                 // 000000005AF0: D3D84009 18000111
	v_accvgpr_read_b32 v10, a18                                // 000000005AF8: D3D8400A 18000112
	v_accvgpr_read_b32 v11, a19                                // 000000005B00: D3D8400B 18000113
	v_accvgpr_read_b32 v12, a24                                // 000000005B08: D3D8400C 18000118
	v_accvgpr_read_b32 v13, a25                                // 000000005B10: D3D8400D 18000119
	v_accvgpr_read_b32 v14, a26                                // 000000005B18: D3D8400E 1800011A
	v_accvgpr_read_b32 v15, a27                                // 000000005B20: D3D8400F 1800011B
	v_cvt_pk_bf16_f32 v16, v8, v9                              // 000000005B28: D2680010 00021308
	v_cvt_pk_bf16_f32 v17, v10, v11                            // 000000005B30: D2680011 0002170A
	v_cvt_pk_bf16_f32 v18, v12, v13                            // 000000005B38: D2680012 00021B0C
	v_cvt_pk_bf16_f32 v19, v14, v15                            // 000000005B40: D2680013 00021F0E
	s_nop 1                                                    // 000000005B48: BF800001
	v_permlane16_swap_b32_e32 v16, v18                         // 000000005B4C: 7E20B312
	s_nop 1                                                    // 000000005B50: BF800001
	v_permlane16_swap_b32_e32 v17, v19                         // 000000005B54: 7E22B313
	s_nop 1                                                    // 000000005B58: BF800001
	buffer_store_dwordx4 v[16:19], v180, s[4:7], 0 offen       // 000000005B5C: E07C1000 800110B4
	v_add_u32_e32 v180, s62, v180                              // 000000005B64: 6969683E
	v_accvgpr_read_b32 v8, a20                                 // 000000005B68: D3D84008 18000114
	v_accvgpr_read_b32 v9, a21                                 // 000000005B70: D3D84009 18000115
	v_accvgpr_read_b32 v10, a22                                // 000000005B78: D3D8400A 18000116
	v_accvgpr_read_b32 v11, a23                                // 000000005B80: D3D8400B 18000117
	v_accvgpr_read_b32 v12, a28                                // 000000005B88: D3D8400C 1800011C
	v_accvgpr_read_b32 v13, a29                                // 000000005B90: D3D8400D 1800011D
	v_accvgpr_read_b32 v14, a30                                // 000000005B98: D3D8400E 1800011E
	v_accvgpr_read_b32 v15, a31                                // 000000005BA0: D3D8400F 1800011F
	v_cvt_pk_bf16_f32 v16, v8, v9                              // 000000005BA8: D2680010 00021308
	v_cvt_pk_bf16_f32 v17, v10, v11                            // 000000005BB0: D2680011 0002170A
	v_cvt_pk_bf16_f32 v18, v12, v13                            // 000000005BB8: D2680012 00021B0C
	v_cvt_pk_bf16_f32 v19, v14, v15                            // 000000005BC0: D2680013 00021F0E
	s_nop 1                                                    // 000000005BC8: BF800001
	v_permlane16_swap_b32_e32 v16, v18                         // 000000005BCC: 7E20B312
	s_nop 1                                                    // 000000005BD0: BF800001
	v_permlane16_swap_b32_e32 v17, v19                         // 000000005BD4: 7E22B313
	s_nop 1                                                    // 000000005BD8: BF800001
	buffer_store_dwordx4 v[16:19], v180, s[4:7], 0 offen       // 000000005BDC: E07C1000 800110B4
	v_add_u32_e32 v180, s62, v180                              // 000000005BE4: 6969683E
	v_accvgpr_read_b32 v8, a32                                 // 000000005BE8: D3D84008 18000120
	v_accvgpr_read_b32 v9, a33                                 // 000000005BF0: D3D84009 18000121
	v_accvgpr_read_b32 v10, a34                                // 000000005BF8: D3D8400A 18000122
	v_accvgpr_read_b32 v11, a35                                // 000000005C00: D3D8400B 18000123
	v_accvgpr_read_b32 v12, a40                                // 000000005C08: D3D8400C 18000128
	v_accvgpr_read_b32 v13, a41                                // 000000005C10: D3D8400D 18000129
	v_accvgpr_read_b32 v14, a42                                // 000000005C18: D3D8400E 1800012A
	v_accvgpr_read_b32 v15, a43                                // 000000005C20: D3D8400F 1800012B
	v_cvt_pk_bf16_f32 v16, v8, v9                              // 000000005C28: D2680010 00021308
	v_cvt_pk_bf16_f32 v17, v10, v11                            // 000000005C30: D2680011 0002170A
	v_cvt_pk_bf16_f32 v18, v12, v13                            // 000000005C38: D2680012 00021B0C
	v_cvt_pk_bf16_f32 v19, v14, v15                            // 000000005C40: D2680013 00021F0E
	s_nop 1                                                    // 000000005C48: BF800001
	v_permlane16_swap_b32_e32 v16, v18                         // 000000005C4C: 7E20B312
	s_nop 1                                                    // 000000005C50: BF800001
	v_permlane16_swap_b32_e32 v17, v19                         // 000000005C54: 7E22B313
	s_nop 1                                                    // 000000005C58: BF800001
	buffer_store_dwordx4 v[16:19], v180, s[4:7], 0 offen       // 000000005C5C: E07C1000 800110B4
	v_add_u32_e32 v180, s62, v180                              // 000000005C64: 6969683E
	v_accvgpr_read_b32 v8, a36                                 // 000000005C68: D3D84008 18000124
	v_accvgpr_read_b32 v9, a37                                 // 000000005C70: D3D84009 18000125
	v_accvgpr_read_b32 v10, a38                                // 000000005C78: D3D8400A 18000126
	v_accvgpr_read_b32 v11, a39                                // 000000005C80: D3D8400B 18000127
	v_accvgpr_read_b32 v12, a44                                // 000000005C88: D3D8400C 1800012C
	v_accvgpr_read_b32 v13, a45                                // 000000005C90: D3D8400D 1800012D
	v_accvgpr_read_b32 v14, a46                                // 000000005C98: D3D8400E 1800012E
	v_accvgpr_read_b32 v15, a47                                // 000000005CA0: D3D8400F 1800012F
	v_cvt_pk_bf16_f32 v16, v8, v9                              // 000000005CA8: D2680010 00021308
	v_cvt_pk_bf16_f32 v17, v10, v11                            // 000000005CB0: D2680011 0002170A
	v_cvt_pk_bf16_f32 v18, v12, v13                            // 000000005CB8: D2680012 00021B0C
	v_cvt_pk_bf16_f32 v19, v14, v15                            // 000000005CC0: D2680013 00021F0E
	s_nop 1                                                    // 000000005CC8: BF800001
	v_permlane16_swap_b32_e32 v16, v18                         // 000000005CCC: 7E20B312
	s_nop 1                                                    // 000000005CD0: BF800001
	v_permlane16_swap_b32_e32 v17, v19                         // 000000005CD4: 7E22B313
	s_nop 1                                                    // 000000005CD8: BF800001
	buffer_store_dwordx4 v[16:19], v180, s[4:7], 0 offen       // 000000005CDC: E07C1000 800110B4
	v_add_u32_e32 v180, s62, v180                              // 000000005CE4: 6969683E
	v_accvgpr_read_b32 v8, a48                                 // 000000005CE8: D3D84008 18000130
	v_accvgpr_read_b32 v9, a49                                 // 000000005CF0: D3D84009 18000131
	v_accvgpr_read_b32 v10, a50                                // 000000005CF8: D3D8400A 18000132
	v_accvgpr_read_b32 v11, a51                                // 000000005D00: D3D8400B 18000133
	v_accvgpr_read_b32 v12, a56                                // 000000005D08: D3D8400C 18000138
	v_accvgpr_read_b32 v13, a57                                // 000000005D10: D3D8400D 18000139
	v_accvgpr_read_b32 v14, a58                                // 000000005D18: D3D8400E 1800013A
	v_accvgpr_read_b32 v15, a59                                // 000000005D20: D3D8400F 1800013B
	v_cvt_pk_bf16_f32 v16, v8, v9                              // 000000005D28: D2680010 00021308
	v_cvt_pk_bf16_f32 v17, v10, v11                            // 000000005D30: D2680011 0002170A
	v_cvt_pk_bf16_f32 v18, v12, v13                            // 000000005D38: D2680012 00021B0C
	v_cvt_pk_bf16_f32 v19, v14, v15                            // 000000005D40: D2680013 00021F0E
	s_nop 1                                                    // 000000005D48: BF800001
	v_permlane16_swap_b32_e32 v16, v18                         // 000000005D4C: 7E20B312
	s_nop 1                                                    // 000000005D50: BF800001
	v_permlane16_swap_b32_e32 v17, v19                         // 000000005D54: 7E22B313
	s_nop 1                                                    // 000000005D58: BF800001
	buffer_store_dwordx4 v[16:19], v180, s[4:7], 0 offen       // 000000005D5C: E07C1000 800110B4
	v_add_u32_e32 v180, s62, v180                              // 000000005D64: 6969683E
	v_accvgpr_read_b32 v8, a52                                 // 000000005D68: D3D84008 18000134
	v_accvgpr_read_b32 v9, a53                                 // 000000005D70: D3D84009 18000135
	v_accvgpr_read_b32 v10, a54                                // 000000005D78: D3D8400A 18000136
	v_accvgpr_read_b32 v11, a55                                // 000000005D80: D3D8400B 18000137
	v_accvgpr_read_b32 v12, a60                                // 000000005D88: D3D8400C 1800013C
	v_accvgpr_read_b32 v13, a61                                // 000000005D90: D3D8400D 1800013D
	v_accvgpr_read_b32 v14, a62                                // 000000005D98: D3D8400E 1800013E
	v_accvgpr_read_b32 v15, a63                                // 000000005DA0: D3D8400F 1800013F
	v_cvt_pk_bf16_f32 v16, v8, v9                              // 000000005DA8: D2680010 00021308
	v_cvt_pk_bf16_f32 v17, v10, v11                            // 000000005DB0: D2680011 0002170A
	v_cvt_pk_bf16_f32 v18, v12, v13                            // 000000005DB8: D2680012 00021B0C
	v_cvt_pk_bf16_f32 v19, v14, v15                            // 000000005DC0: D2680013 00021F0E
	s_nop 1                                                    // 000000005DC8: BF800001
	v_permlane16_swap_b32_e32 v16, v18                         // 000000005DCC: 7E20B312
	s_nop 1                                                    // 000000005DD0: BF800001
	v_permlane16_swap_b32_e32 v17, v19                         // 000000005DD4: 7E22B313
	s_nop 1                                                    // 000000005DD8: BF800001
	buffer_store_dwordx4 v[16:19], v180, s[4:7], 0 offen       // 000000005DDC: E07C1000 800110B4
	v_add_u32_e32 v180, s62, v180                              // 000000005DE4: 6969683E
	v_accvgpr_read_b32 v8, a64                                 // 000000005DE8: D3D84008 18000140
	v_accvgpr_read_b32 v9, a65                                 // 000000005DF0: D3D84009 18000141
	v_accvgpr_read_b32 v10, a66                                // 000000005DF8: D3D8400A 18000142
	v_accvgpr_read_b32 v11, a67                                // 000000005E00: D3D8400B 18000143
	v_accvgpr_read_b32 v12, a72                                // 000000005E08: D3D8400C 18000148
	v_accvgpr_read_b32 v13, a73                                // 000000005E10: D3D8400D 18000149
	v_accvgpr_read_b32 v14, a74                                // 000000005E18: D3D8400E 1800014A
	v_accvgpr_read_b32 v15, a75                                // 000000005E20: D3D8400F 1800014B
	v_cvt_pk_bf16_f32 v16, v8, v9                              // 000000005E28: D2680010 00021308
	v_cvt_pk_bf16_f32 v17, v10, v11                            // 000000005E30: D2680011 0002170A
	v_cvt_pk_bf16_f32 v18, v12, v13                            // 000000005E38: D2680012 00021B0C
	v_cvt_pk_bf16_f32 v19, v14, v15                            // 000000005E40: D2680013 00021F0E
	s_nop 1                                                    // 000000005E48: BF800001
	v_permlane16_swap_b32_e32 v16, v18                         // 000000005E4C: 7E20B312
	s_nop 1                                                    // 000000005E50: BF800001
	v_permlane16_swap_b32_e32 v17, v19                         // 000000005E54: 7E22B313
	s_nop 1                                                    // 000000005E58: BF800001
	buffer_store_dwordx4 v[16:19], v180, s[4:7], 0 offen       // 000000005E5C: E07C1000 800110B4
	v_add_u32_e32 v180, s62, v180                              // 000000005E64: 6969683E
	v_accvgpr_read_b32 v8, a68                                 // 000000005E68: D3D84008 18000144
	v_accvgpr_read_b32 v9, a69                                 // 000000005E70: D3D84009 18000145
	v_accvgpr_read_b32 v10, a70                                // 000000005E78: D3D8400A 18000146
	v_accvgpr_read_b32 v11, a71                                // 000000005E80: D3D8400B 18000147
	v_accvgpr_read_b32 v12, a76                                // 000000005E88: D3D8400C 1800014C
	v_accvgpr_read_b32 v13, a77                                // 000000005E90: D3D8400D 1800014D
	v_accvgpr_read_b32 v14, a78                                // 000000005E98: D3D8400E 1800014E
	v_accvgpr_read_b32 v15, a79                                // 000000005EA0: D3D8400F 1800014F
	v_cvt_pk_bf16_f32 v16, v8, v9                              // 000000005EA8: D2680010 00021308
	v_cvt_pk_bf16_f32 v17, v10, v11                            // 000000005EB0: D2680011 0002170A
	v_cvt_pk_bf16_f32 v18, v12, v13                            // 000000005EB8: D2680012 00021B0C
	v_cvt_pk_bf16_f32 v19, v14, v15                            // 000000005EC0: D2680013 00021F0E
	s_nop 1                                                    // 000000005EC8: BF800001
	v_permlane16_swap_b32_e32 v16, v18                         // 000000005ECC: 7E20B312
	s_nop 1                                                    // 000000005ED0: BF800001
	v_permlane16_swap_b32_e32 v17, v19                         // 000000005ED4: 7E22B313
	s_nop 1                                                    // 000000005ED8: BF800001
	buffer_store_dwordx4 v[16:19], v180, s[4:7], 0 offen       // 000000005EDC: E07C1000 800110B4
	v_add_u32_e32 v180, s62, v180                              // 000000005EE4: 6969683E
	s_branch label_0E00                                        // 000000005EE8: BF820145

0000000000005eec <label_0CBB>:
	s_mul_i32 s62, s36, 16                                     // 000000005EEC: 923E9024
	s_cmp_lt_i32 s60, s44                                      // 000000005EF0: BF042C3C
	s_cbranch_scc0 label_0E00                                  // 000000005EF4: BF840142
	s_addk_i32 s60, 0x20                                       // 000000005EF8: B73C0020
	v_add_u32_e32 v180, 0, v176                                // 000000005EFC: 69696080
	v_accvgpr_read_b32 v8, a0                                  // 000000005F00: D3D84008 18000100
	v_accvgpr_read_b32 v9, a1                                  // 000000005F08: D3D84009 18000101
	v_accvgpr_read_b32 v10, a2                                 // 000000005F10: D3D8400A 18000102
	v_accvgpr_read_b32 v11, a3                                 // 000000005F18: D3D8400B 18000103
	v_accvgpr_read_b32 v12, a8                                 // 000000005F20: D3D8400C 18000108
	v_accvgpr_read_b32 v13, a9                                 // 000000005F28: D3D8400D 18000109
	v_accvgpr_read_b32 v14, a10                                // 000000005F30: D3D8400E 1800010A
	v_accvgpr_read_b32 v15, a11                                // 000000005F38: D3D8400F 1800010B
	v_cvt_pk_bf16_f32 v16, v8, v9                              // 000000005F40: D2680010 00021308
	v_cvt_pk_bf16_f32 v17, v10, v11                            // 000000005F48: D2680011 0002170A
	v_cvt_pk_bf16_f32 v18, v12, v13                            // 000000005F50: D2680012 00021B0C
	v_cvt_pk_bf16_f32 v19, v14, v15                            // 000000005F58: D2680013 00021F0E
	s_nop 1                                                    // 000000005F60: BF800001
	v_permlane16_swap_b32_e32 v16, v18                         // 000000005F64: 7E20B312
	s_nop 1                                                    // 000000005F68: BF800001
	v_permlane16_swap_b32_e32 v17, v19                         // 000000005F6C: 7E22B313
	s_nop 1                                                    // 000000005F70: BF800001
	buffer_store_dwordx4 v[16:19], v180, s[4:7], 0 offen       // 000000005F74: E07C1000 800110B4
	v_add_u32_e32 v180, s62, v180                              // 000000005F7C: 6969683E
	v_accvgpr_read_b32 v8, a4                                  // 000000005F80: D3D84008 18000104
	v_accvgpr_read_b32 v9, a5                                  // 000000005F88: D3D84009 18000105
	v_accvgpr_read_b32 v10, a6                                 // 000000005F90: D3D8400A 18000106
	v_accvgpr_read_b32 v11, a7                                 // 000000005F98: D3D8400B 18000107
	v_accvgpr_read_b32 v12, a12                                // 000000005FA0: D3D8400C 1800010C
	v_accvgpr_read_b32 v13, a13                                // 000000005FA8: D3D8400D 1800010D
	v_accvgpr_read_b32 v14, a14                                // 000000005FB0: D3D8400E 1800010E
	v_accvgpr_read_b32 v15, a15                                // 000000005FB8: D3D8400F 1800010F
	v_cvt_pk_bf16_f32 v16, v8, v9                              // 000000005FC0: D2680010 00021308
	v_cvt_pk_bf16_f32 v17, v10, v11                            // 000000005FC8: D2680011 0002170A
	v_cvt_pk_bf16_f32 v18, v12, v13                            // 000000005FD0: D2680012 00021B0C
	v_cvt_pk_bf16_f32 v19, v14, v15                            // 000000005FD8: D2680013 00021F0E
	s_nop 1                                                    // 000000005FE0: BF800001
	v_permlane16_swap_b32_e32 v16, v18                         // 000000005FE4: 7E20B312
	s_nop 1                                                    // 000000005FE8: BF800001
	v_permlane16_swap_b32_e32 v17, v19                         // 000000005FEC: 7E22B313
	s_nop 1                                                    // 000000005FF0: BF800001
	buffer_store_dwordx4 v[16:19], v180, s[4:7], 0 offen       // 000000005FF4: E07C1000 800110B4
	v_add_u32_e32 v180, s62, v180                              // 000000005FFC: 6969683E
	v_accvgpr_read_b32 v8, a16                                 // 000000006000: D3D84008 18000110
	v_accvgpr_read_b32 v9, a17                                 // 000000006008: D3D84009 18000111
	v_accvgpr_read_b32 v10, a18                                // 000000006010: D3D8400A 18000112
	v_accvgpr_read_b32 v11, a19                                // 000000006018: D3D8400B 18000113
	v_accvgpr_read_b32 v12, a24                                // 000000006020: D3D8400C 18000118
	v_accvgpr_read_b32 v13, a25                                // 000000006028: D3D8400D 18000119
	v_accvgpr_read_b32 v14, a26                                // 000000006030: D3D8400E 1800011A
	v_accvgpr_read_b32 v15, a27                                // 000000006038: D3D8400F 1800011B
	v_cvt_pk_bf16_f32 v16, v8, v9                              // 000000006040: D2680010 00021308
	v_cvt_pk_bf16_f32 v17, v10, v11                            // 000000006048: D2680011 0002170A
	v_cvt_pk_bf16_f32 v18, v12, v13                            // 000000006050: D2680012 00021B0C
	v_cvt_pk_bf16_f32 v19, v14, v15                            // 000000006058: D2680013 00021F0E
	s_nop 1                                                    // 000000006060: BF800001
	v_permlane16_swap_b32_e32 v16, v18                         // 000000006064: 7E20B312
	s_nop 1                                                    // 000000006068: BF800001
	v_permlane16_swap_b32_e32 v17, v19                         // 00000000606C: 7E22B313
	s_nop 1                                                    // 000000006070: BF800001
	buffer_store_dwordx4 v[16:19], v180, s[4:7], 0 offen       // 000000006074: E07C1000 800110B4
	v_add_u32_e32 v180, s62, v180                              // 00000000607C: 6969683E
	v_accvgpr_read_b32 v8, a20                                 // 000000006080: D3D84008 18000114
	v_accvgpr_read_b32 v9, a21                                 // 000000006088: D3D84009 18000115
	v_accvgpr_read_b32 v10, a22                                // 000000006090: D3D8400A 18000116
	v_accvgpr_read_b32 v11, a23                                // 000000006098: D3D8400B 18000117
	v_accvgpr_read_b32 v12, a28                                // 0000000060A0: D3D8400C 1800011C
	v_accvgpr_read_b32 v13, a29                                // 0000000060A8: D3D8400D 1800011D
	v_accvgpr_read_b32 v14, a30                                // 0000000060B0: D3D8400E 1800011E
	v_accvgpr_read_b32 v15, a31                                // 0000000060B8: D3D8400F 1800011F
	v_cvt_pk_bf16_f32 v16, v8, v9                              // 0000000060C0: D2680010 00021308
	v_cvt_pk_bf16_f32 v17, v10, v11                            // 0000000060C8: D2680011 0002170A
	v_cvt_pk_bf16_f32 v18, v12, v13                            // 0000000060D0: D2680012 00021B0C
	v_cvt_pk_bf16_f32 v19, v14, v15                            // 0000000060D8: D2680013 00021F0E
	s_nop 1                                                    // 0000000060E0: BF800001
	v_permlane16_swap_b32_e32 v16, v18                         // 0000000060E4: 7E20B312
	s_nop 1                                                    // 0000000060E8: BF800001
	v_permlane16_swap_b32_e32 v17, v19                         // 0000000060EC: 7E22B313
	s_nop 1                                                    // 0000000060F0: BF800001
	buffer_store_dwordx4 v[16:19], v180, s[4:7], 0 offen       // 0000000060F4: E07C1000 800110B4
	v_add_u32_e32 v180, s62, v180                              // 0000000060FC: 6969683E
	v_accvgpr_read_b32 v8, a32                                 // 000000006100: D3D84008 18000120
	v_accvgpr_read_b32 v9, a33                                 // 000000006108: D3D84009 18000121
	v_accvgpr_read_b32 v10, a34                                // 000000006110: D3D8400A 18000122
	v_accvgpr_read_b32 v11, a35                                // 000000006118: D3D8400B 18000123
	v_accvgpr_read_b32 v12, a40                                // 000000006120: D3D8400C 18000128
	v_accvgpr_read_b32 v13, a41                                // 000000006128: D3D8400D 18000129
	v_accvgpr_read_b32 v14, a42                                // 000000006130: D3D8400E 1800012A
	v_accvgpr_read_b32 v15, a43                                // 000000006138: D3D8400F 1800012B
	v_cvt_pk_bf16_f32 v16, v8, v9                              // 000000006140: D2680010 00021308
	v_cvt_pk_bf16_f32 v17, v10, v11                            // 000000006148: D2680011 0002170A
	v_cvt_pk_bf16_f32 v18, v12, v13                            // 000000006150: D2680012 00021B0C
	v_cvt_pk_bf16_f32 v19, v14, v15                            // 000000006158: D2680013 00021F0E
	s_nop 1                                                    // 000000006160: BF800001
	v_permlane16_swap_b32_e32 v16, v18                         // 000000006164: 7E20B312
	s_nop 1                                                    // 000000006168: BF800001
	v_permlane16_swap_b32_e32 v17, v19                         // 00000000616C: 7E22B313
	s_nop 1                                                    // 000000006170: BF800001
	buffer_store_dwordx4 v[16:19], v180, s[4:7], 0 offen       // 000000006174: E07C1000 800110B4
	v_add_u32_e32 v180, s62, v180                              // 00000000617C: 6969683E
	v_accvgpr_read_b32 v8, a36                                 // 000000006180: D3D84008 18000124
	v_accvgpr_read_b32 v9, a37                                 // 000000006188: D3D84009 18000125
	v_accvgpr_read_b32 v10, a38                                // 000000006190: D3D8400A 18000126
	v_accvgpr_read_b32 v11, a39                                // 000000006198: D3D8400B 18000127
	v_accvgpr_read_b32 v12, a44                                // 0000000061A0: D3D8400C 1800012C
	v_accvgpr_read_b32 v13, a45                                // 0000000061A8: D3D8400D 1800012D
	v_accvgpr_read_b32 v14, a46                                // 0000000061B0: D3D8400E 1800012E
	v_accvgpr_read_b32 v15, a47                                // 0000000061B8: D3D8400F 1800012F
	v_cvt_pk_bf16_f32 v16, v8, v9                              // 0000000061C0: D2680010 00021308
	v_cvt_pk_bf16_f32 v17, v10, v11                            // 0000000061C8: D2680011 0002170A
	v_cvt_pk_bf16_f32 v18, v12, v13                            // 0000000061D0: D2680012 00021B0C
	v_cvt_pk_bf16_f32 v19, v14, v15                            // 0000000061D8: D2680013 00021F0E
	s_nop 1                                                    // 0000000061E0: BF800001
	v_permlane16_swap_b32_e32 v16, v18                         // 0000000061E4: 7E20B312
	s_nop 1                                                    // 0000000061E8: BF800001
	v_permlane16_swap_b32_e32 v17, v19                         // 0000000061EC: 7E22B313
	s_nop 1                                                    // 0000000061F0: BF800001
	buffer_store_dwordx4 v[16:19], v180, s[4:7], 0 offen       // 0000000061F4: E07C1000 800110B4
	v_add_u32_e32 v180, s62, v180                              // 0000000061FC: 6969683E
	v_accvgpr_read_b32 v8, a48                                 // 000000006200: D3D84008 18000130
	v_accvgpr_read_b32 v9, a49                                 // 000000006208: D3D84009 18000131
	v_accvgpr_read_b32 v10, a50                                // 000000006210: D3D8400A 18000132
	v_accvgpr_read_b32 v11, a51                                // 000000006218: D3D8400B 18000133
	v_accvgpr_read_b32 v12, a56                                // 000000006220: D3D8400C 18000138
	v_accvgpr_read_b32 v13, a57                                // 000000006228: D3D8400D 18000139
	v_accvgpr_read_b32 v14, a58                                // 000000006230: D3D8400E 1800013A
	v_accvgpr_read_b32 v15, a59                                // 000000006238: D3D8400F 1800013B
	v_cvt_pk_bf16_f32 v16, v8, v9                              // 000000006240: D2680010 00021308
	v_cvt_pk_bf16_f32 v17, v10, v11                            // 000000006248: D2680011 0002170A
	v_cvt_pk_bf16_f32 v18, v12, v13                            // 000000006250: D2680012 00021B0C
	v_cvt_pk_bf16_f32 v19, v14, v15                            // 000000006258: D2680013 00021F0E
	s_nop 1                                                    // 000000006260: BF800001
	v_permlane16_swap_b32_e32 v16, v18                         // 000000006264: 7E20B312
	s_nop 1                                                    // 000000006268: BF800001
	v_permlane16_swap_b32_e32 v17, v19                         // 00000000626C: 7E22B313
	s_nop 1                                                    // 000000006270: BF800001
	buffer_store_dwordx4 v[16:19], v180, s[4:7], 0 offen       // 000000006274: E07C1000 800110B4
	v_add_u32_e32 v180, s62, v180                              // 00000000627C: 6969683E
	v_accvgpr_read_b32 v8, a52                                 // 000000006280: D3D84008 18000134
	v_accvgpr_read_b32 v9, a53                                 // 000000006288: D3D84009 18000135
	v_accvgpr_read_b32 v10, a54                                // 000000006290: D3D8400A 18000136
	v_accvgpr_read_b32 v11, a55                                // 000000006298: D3D8400B 18000137
	v_accvgpr_read_b32 v12, a60                                // 0000000062A0: D3D8400C 1800013C
	v_accvgpr_read_b32 v13, a61                                // 0000000062A8: D3D8400D 1800013D
	v_accvgpr_read_b32 v14, a62                                // 0000000062B0: D3D8400E 1800013E
	v_accvgpr_read_b32 v15, a63                                // 0000000062B8: D3D8400F 1800013F
	v_cvt_pk_bf16_f32 v16, v8, v9                              // 0000000062C0: D2680010 00021308
	v_cvt_pk_bf16_f32 v17, v10, v11                            // 0000000062C8: D2680011 0002170A
	v_cvt_pk_bf16_f32 v18, v12, v13                            // 0000000062D0: D2680012 00021B0C
	v_cvt_pk_bf16_f32 v19, v14, v15                            // 0000000062D8: D2680013 00021F0E
	s_nop 1                                                    // 0000000062E0: BF800001
	v_permlane16_swap_b32_e32 v16, v18                         // 0000000062E4: 7E20B312
	s_nop 1                                                    // 0000000062E8: BF800001
	v_permlane16_swap_b32_e32 v17, v19                         // 0000000062EC: 7E22B313
	s_nop 1                                                    // 0000000062F0: BF800001
	buffer_store_dwordx4 v[16:19], v180, s[4:7], 0 offen       // 0000000062F4: E07C1000 800110B4
	v_add_u32_e32 v180, s62, v180                              // 0000000062FC: 6969683E
	v_accvgpr_read_b32 v8, a64                                 // 000000006300: D3D84008 18000140
	v_accvgpr_read_b32 v9, a65                                 // 000000006308: D3D84009 18000141
	v_accvgpr_read_b32 v10, a66                                // 000000006310: D3D8400A 18000142
	v_accvgpr_read_b32 v11, a67                                // 000000006318: D3D8400B 18000143
	v_accvgpr_read_b32 v12, a72                                // 000000006320: D3D8400C 18000148
	v_accvgpr_read_b32 v13, a73                                // 000000006328: D3D8400D 18000149
	v_accvgpr_read_b32 v14, a74                                // 000000006330: D3D8400E 1800014A
	v_accvgpr_read_b32 v15, a75                                // 000000006338: D3D8400F 1800014B
	v_cvt_pk_bf16_f32 v16, v8, v9                              // 000000006340: D2680010 00021308
	v_cvt_pk_bf16_f32 v17, v10, v11                            // 000000006348: D2680011 0002170A
	v_cvt_pk_bf16_f32 v18, v12, v13                            // 000000006350: D2680012 00021B0C
	v_cvt_pk_bf16_f32 v19, v14, v15                            // 000000006358: D2680013 00021F0E
	s_nop 1                                                    // 000000006360: BF800001
	v_permlane16_swap_b32_e32 v16, v18                         // 000000006364: 7E20B312
	s_nop 1                                                    // 000000006368: BF800001
	v_permlane16_swap_b32_e32 v17, v19                         // 00000000636C: 7E22B313
	s_nop 1                                                    // 000000006370: BF800001
	buffer_store_dwordx4 v[16:19], v180, s[4:7], 0 offen       // 000000006374: E07C1000 800110B4
	v_add_u32_e32 v180, s62, v180                              // 00000000637C: 6969683E
	v_accvgpr_read_b32 v8, a68                                 // 000000006380: D3D84008 18000144
	v_accvgpr_read_b32 v9, a69                                 // 000000006388: D3D84009 18000145
	v_accvgpr_read_b32 v10, a70                                // 000000006390: D3D8400A 18000146
	v_accvgpr_read_b32 v11, a71                                // 000000006398: D3D8400B 18000147
	v_accvgpr_read_b32 v12, a76                                // 0000000063A0: D3D8400C 1800014C
	v_accvgpr_read_b32 v13, a77                                // 0000000063A8: D3D8400D 1800014D
	v_accvgpr_read_b32 v14, a78                                // 0000000063B0: D3D8400E 1800014E
	v_accvgpr_read_b32 v15, a79                                // 0000000063B8: D3D8400F 1800014F
	v_cvt_pk_bf16_f32 v16, v8, v9                              // 0000000063C0: D2680010 00021308
	v_cvt_pk_bf16_f32 v17, v10, v11                            // 0000000063C8: D2680011 0002170A
	v_cvt_pk_bf16_f32 v18, v12, v13                            // 0000000063D0: D2680012 00021B0C
	v_cvt_pk_bf16_f32 v19, v14, v15                            // 0000000063D8: D2680013 00021F0E
	s_nop 1                                                    // 0000000063E0: BF800001
	v_permlane16_swap_b32_e32 v16, v18                         // 0000000063E4: 7E20B312
	s_nop 1                                                    // 0000000063E8: BF800001
	v_permlane16_swap_b32_e32 v17, v19                         // 0000000063EC: 7E22B313
	s_nop 1                                                    // 0000000063F0: BF800001
	buffer_store_dwordx4 v[16:19], v180, s[4:7], 0 offen       // 0000000063F4: E07C1000 800110B4
	v_add_u32_e32 v180, s62, v180                              // 0000000063FC: 6969683E

0000000000006400 <label_0E00>:
	s_waitcnt vmcnt(0) expcnt(0) lgkmcnt(0)                    // 000000006400: BF8C0000
	s_endpgm                                                   // 000000006404: BF810000
